;; amdgpu-corpus repo=ROCm/rocFFT kind=compiled arch=gfx906 opt=O3
	.text
	.amdgcn_target "amdgcn-amd-amdhsa--gfx906"
	.amdhsa_code_object_version 6
	.protected	fft_rtc_fwd_len4000_factors_10_10_10_4_wgs_200_tpt_200_halfLds_dp_op_CI_CI_unitstride_sbrr_R2C_dirReg ; -- Begin function fft_rtc_fwd_len4000_factors_10_10_10_4_wgs_200_tpt_200_halfLds_dp_op_CI_CI_unitstride_sbrr_R2C_dirReg
	.globl	fft_rtc_fwd_len4000_factors_10_10_10_4_wgs_200_tpt_200_halfLds_dp_op_CI_CI_unitstride_sbrr_R2C_dirReg
	.p2align	8
	.type	fft_rtc_fwd_len4000_factors_10_10_10_4_wgs_200_tpt_200_halfLds_dp_op_CI_CI_unitstride_sbrr_R2C_dirReg,@function
fft_rtc_fwd_len4000_factors_10_10_10_4_wgs_200_tpt_200_halfLds_dp_op_CI_CI_unitstride_sbrr_R2C_dirReg: ; @fft_rtc_fwd_len4000_factors_10_10_10_4_wgs_200_tpt_200_halfLds_dp_op_CI_CI_unitstride_sbrr_R2C_dirReg
; %bb.0:
	s_load_dwordx4 s[8:11], s[4:5], 0x58
	s_load_dwordx4 s[12:15], s[4:5], 0x0
	;; [unrolled: 1-line block ×3, first 2 shown]
	v_mul_u32_u24_e32 v1, 0x148, v0
	v_add_u32_sdwa v5, s6, v1 dst_sel:DWORD dst_unused:UNUSED_PAD src0_sel:DWORD src1_sel:WORD_1
	v_mov_b32_e32 v3, 0
	s_waitcnt lgkmcnt(0)
	v_cmp_lt_u64_e64 s[0:1], s[14:15], 2
	v_mov_b32_e32 v1, 0
	v_mov_b32_e32 v6, v3
	s_and_b64 vcc, exec, s[0:1]
	v_mov_b32_e32 v2, 0
	s_cbranch_vccnz .LBB0_8
; %bb.1:
	s_load_dwordx2 s[0:1], s[4:5], 0x10
	s_add_u32 s2, s18, 8
	s_addc_u32 s3, s19, 0
	s_add_u32 s6, s16, 8
	v_mov_b32_e32 v1, 0
	s_addc_u32 s7, s17, 0
	v_mov_b32_e32 v2, 0
	s_waitcnt lgkmcnt(0)
	s_add_u32 s20, s0, 8
	v_mov_b32_e32 v83, v2
	s_addc_u32 s21, s1, 0
	s_mov_b64 s[22:23], 1
	v_mov_b32_e32 v82, v1
.LBB0_2:                                ; =>This Inner Loop Header: Depth=1
	s_load_dwordx2 s[24:25], s[20:21], 0x0
                                        ; implicit-def: $vgpr84_vgpr85
	s_waitcnt lgkmcnt(0)
	v_or_b32_e32 v4, s25, v6
	v_cmp_ne_u64_e32 vcc, 0, v[3:4]
	s_and_saveexec_b64 s[0:1], vcc
	s_xor_b64 s[26:27], exec, s[0:1]
	s_cbranch_execz .LBB0_4
; %bb.3:                                ;   in Loop: Header=BB0_2 Depth=1
	v_cvt_f32_u32_e32 v4, s24
	v_cvt_f32_u32_e32 v7, s25
	s_sub_u32 s0, 0, s24
	s_subb_u32 s1, 0, s25
	v_mac_f32_e32 v4, 0x4f800000, v7
	v_rcp_f32_e32 v4, v4
	v_mul_f32_e32 v4, 0x5f7ffffc, v4
	v_mul_f32_e32 v7, 0x2f800000, v4
	v_trunc_f32_e32 v7, v7
	v_mac_f32_e32 v4, 0xcf800000, v7
	v_cvt_u32_f32_e32 v7, v7
	v_cvt_u32_f32_e32 v4, v4
	v_mul_lo_u32 v8, s0, v7
	v_mul_hi_u32 v9, s0, v4
	v_mul_lo_u32 v11, s1, v4
	v_mul_lo_u32 v10, s0, v4
	v_add_u32_e32 v8, v9, v8
	v_add_u32_e32 v8, v8, v11
	v_mul_hi_u32 v9, v4, v10
	v_mul_lo_u32 v11, v4, v8
	v_mul_hi_u32 v13, v4, v8
	v_mul_hi_u32 v12, v7, v10
	v_mul_lo_u32 v10, v7, v10
	v_mul_hi_u32 v14, v7, v8
	v_add_co_u32_e32 v9, vcc, v9, v11
	v_addc_co_u32_e32 v11, vcc, 0, v13, vcc
	v_mul_lo_u32 v8, v7, v8
	v_add_co_u32_e32 v9, vcc, v9, v10
	v_addc_co_u32_e32 v9, vcc, v11, v12, vcc
	v_addc_co_u32_e32 v10, vcc, 0, v14, vcc
	v_add_co_u32_e32 v8, vcc, v9, v8
	v_addc_co_u32_e32 v9, vcc, 0, v10, vcc
	v_add_co_u32_e32 v4, vcc, v4, v8
	v_addc_co_u32_e32 v7, vcc, v7, v9, vcc
	v_mul_lo_u32 v8, s0, v7
	v_mul_hi_u32 v9, s0, v4
	v_mul_lo_u32 v10, s1, v4
	v_mul_lo_u32 v11, s0, v4
	v_add_u32_e32 v8, v9, v8
	v_add_u32_e32 v8, v8, v10
	v_mul_lo_u32 v12, v4, v8
	v_mul_hi_u32 v13, v4, v11
	v_mul_hi_u32 v14, v4, v8
	v_mul_hi_u32 v10, v7, v11
	v_mul_lo_u32 v11, v7, v11
	v_mul_hi_u32 v9, v7, v8
	v_add_co_u32_e32 v12, vcc, v13, v12
	v_addc_co_u32_e32 v13, vcc, 0, v14, vcc
	v_mul_lo_u32 v8, v7, v8
	v_add_co_u32_e32 v11, vcc, v12, v11
	v_addc_co_u32_e32 v10, vcc, v13, v10, vcc
	v_addc_co_u32_e32 v9, vcc, 0, v9, vcc
	v_add_co_u32_e32 v8, vcc, v10, v8
	v_addc_co_u32_e32 v9, vcc, 0, v9, vcc
	v_add_co_u32_e32 v4, vcc, v4, v8
	v_addc_co_u32_e32 v9, vcc, v7, v9, vcc
	v_mad_u64_u32 v[7:8], s[0:1], v5, v9, 0
	v_mul_hi_u32 v10, v5, v4
	v_add_co_u32_e32 v11, vcc, v10, v7
	v_addc_co_u32_e32 v12, vcc, 0, v8, vcc
	v_mad_u64_u32 v[7:8], s[0:1], v6, v4, 0
	v_mad_u64_u32 v[9:10], s[0:1], v6, v9, 0
	v_add_co_u32_e32 v4, vcc, v11, v7
	v_addc_co_u32_e32 v4, vcc, v12, v8, vcc
	v_addc_co_u32_e32 v7, vcc, 0, v10, vcc
	v_add_co_u32_e32 v4, vcc, v4, v9
	v_addc_co_u32_e32 v9, vcc, 0, v7, vcc
	v_mul_lo_u32 v10, s25, v4
	v_mul_lo_u32 v11, s24, v9
	v_mad_u64_u32 v[7:8], s[0:1], s24, v4, 0
	v_add3_u32 v8, v8, v11, v10
	v_sub_u32_e32 v10, v6, v8
	v_mov_b32_e32 v11, s25
	v_sub_co_u32_e32 v7, vcc, v5, v7
	v_subb_co_u32_e64 v10, s[0:1], v10, v11, vcc
	v_subrev_co_u32_e64 v11, s[0:1], s24, v7
	v_subbrev_co_u32_e64 v10, s[0:1], 0, v10, s[0:1]
	v_cmp_le_u32_e64 s[0:1], s25, v10
	v_cndmask_b32_e64 v12, 0, -1, s[0:1]
	v_cmp_le_u32_e64 s[0:1], s24, v11
	v_cndmask_b32_e64 v11, 0, -1, s[0:1]
	v_cmp_eq_u32_e64 s[0:1], s25, v10
	v_cndmask_b32_e64 v10, v12, v11, s[0:1]
	v_add_co_u32_e64 v11, s[0:1], 2, v4
	v_addc_co_u32_e64 v12, s[0:1], 0, v9, s[0:1]
	v_add_co_u32_e64 v13, s[0:1], 1, v4
	v_addc_co_u32_e64 v14, s[0:1], 0, v9, s[0:1]
	v_subb_co_u32_e32 v8, vcc, v6, v8, vcc
	v_cmp_ne_u32_e64 s[0:1], 0, v10
	v_cmp_le_u32_e32 vcc, s25, v8
	v_cndmask_b32_e64 v10, v14, v12, s[0:1]
	v_cndmask_b32_e64 v12, 0, -1, vcc
	v_cmp_le_u32_e32 vcc, s24, v7
	v_cndmask_b32_e64 v7, 0, -1, vcc
	v_cmp_eq_u32_e32 vcc, s25, v8
	v_cndmask_b32_e32 v7, v12, v7, vcc
	v_cmp_ne_u32_e32 vcc, 0, v7
	v_cndmask_b32_e64 v7, v13, v11, s[0:1]
	v_cndmask_b32_e32 v85, v9, v10, vcc
	v_cndmask_b32_e32 v84, v4, v7, vcc
.LBB0_4:                                ;   in Loop: Header=BB0_2 Depth=1
	s_andn2_saveexec_b64 s[0:1], s[26:27]
	s_cbranch_execz .LBB0_6
; %bb.5:                                ;   in Loop: Header=BB0_2 Depth=1
	v_cvt_f32_u32_e32 v4, s24
	s_sub_i32 s26, 0, s24
	v_mov_b32_e32 v85, v3
	v_rcp_iflag_f32_e32 v4, v4
	v_mul_f32_e32 v4, 0x4f7ffffe, v4
	v_cvt_u32_f32_e32 v4, v4
	v_mul_lo_u32 v7, s26, v4
	v_mul_hi_u32 v7, v4, v7
	v_add_u32_e32 v4, v4, v7
	v_mul_hi_u32 v4, v5, v4
	v_mul_lo_u32 v7, v4, s24
	v_add_u32_e32 v8, 1, v4
	v_sub_u32_e32 v7, v5, v7
	v_subrev_u32_e32 v9, s24, v7
	v_cmp_le_u32_e32 vcc, s24, v7
	v_cndmask_b32_e32 v7, v7, v9, vcc
	v_cndmask_b32_e32 v4, v4, v8, vcc
	v_add_u32_e32 v8, 1, v4
	v_cmp_le_u32_e32 vcc, s24, v7
	v_cndmask_b32_e32 v84, v4, v8, vcc
.LBB0_6:                                ;   in Loop: Header=BB0_2 Depth=1
	s_or_b64 exec, exec, s[0:1]
	v_mul_lo_u32 v4, v85, s24
	v_mul_lo_u32 v9, v84, s25
	v_mad_u64_u32 v[7:8], s[0:1], v84, s24, 0
	s_load_dwordx2 s[0:1], s[6:7], 0x0
	s_load_dwordx2 s[24:25], s[2:3], 0x0
	v_add3_u32 v4, v8, v9, v4
	v_sub_co_u32_e32 v5, vcc, v5, v7
	v_subb_co_u32_e32 v4, vcc, v6, v4, vcc
	s_waitcnt lgkmcnt(0)
	v_mul_lo_u32 v6, s0, v4
	v_mul_lo_u32 v7, s1, v5
	v_mad_u64_u32 v[1:2], s[0:1], s0, v5, v[1:2]
	v_mul_lo_u32 v4, s24, v4
	v_mul_lo_u32 v8, s25, v5
	v_mad_u64_u32 v[82:83], s[0:1], s24, v5, v[82:83]
	s_add_u32 s22, s22, 1
	s_addc_u32 s23, s23, 0
	s_add_u32 s2, s2, 8
	v_add3_u32 v83, v8, v83, v4
	s_addc_u32 s3, s3, 0
	v_mov_b32_e32 v4, s14
	s_add_u32 s6, s6, 8
	v_mov_b32_e32 v5, s15
	s_addc_u32 s7, s7, 0
	v_cmp_ge_u64_e32 vcc, s[22:23], v[4:5]
	s_add_u32 s20, s20, 8
	v_add3_u32 v2, v7, v2, v6
	s_addc_u32 s21, s21, 0
	s_cbranch_vccnz .LBB0_9
; %bb.7:                                ;   in Loop: Header=BB0_2 Depth=1
	v_mov_b32_e32 v5, v84
	v_mov_b32_e32 v6, v85
	s_branch .LBB0_2
.LBB0_8:
	v_mov_b32_e32 v83, v2
	v_mov_b32_e32 v85, v6
	;; [unrolled: 1-line block ×4, first 2 shown]
.LBB0_9:
	s_load_dwordx2 s[4:5], s[4:5], 0x28
	s_lshl_b64 s[6:7], s[14:15], 3
	s_add_u32 s2, s18, s6
	s_addc_u32 s3, s19, s7
                                        ; implicit-def: $vgpr80
                                        ; implicit-def: $vgpr86
                                        ; implicit-def: $vgpr90
                                        ; implicit-def: $vgpr88
                                        ; implicit-def: $vgpr89
	s_waitcnt lgkmcnt(0)
	v_cmp_gt_u64_e64 s[0:1], s[4:5], v[84:85]
	v_cmp_le_u64_e32 vcc, s[4:5], v[84:85]
	s_and_saveexec_b64 s[4:5], vcc
	s_xor_b64 s[4:5], exec, s[4:5]
; %bb.10:
	s_mov_b32 s14, 0x147ae15
	v_mul_hi_u32 v1, v0, s14
	v_mul_u32_u24_e32 v1, 0xc8, v1
	v_sub_u32_e32 v80, v0, v1
	v_add_u32_e32 v86, 0xc8, v80
	v_add_u32_e32 v90, 0x190, v80
	;; [unrolled: 1-line block ×4, first 2 shown]
                                        ; implicit-def: $vgpr0
                                        ; implicit-def: $vgpr1_vgpr2
; %bb.11:
	s_andn2_saveexec_b64 s[4:5], s[4:5]
	s_cbranch_execz .LBB0_13
; %bb.12:
	s_add_u32 s6, s16, s6
	s_addc_u32 s7, s17, s7
	s_load_dwordx2 s[6:7], s[6:7], 0x0
	s_mov_b32 s14, 0x147ae15
	v_mul_hi_u32 v5, v0, s14
	s_waitcnt lgkmcnt(0)
	v_mul_lo_u32 v6, s7, v84
	v_mul_lo_u32 v7, s6, v85
	v_mad_u64_u32 v[3:4], s[6:7], s6, v84, 0
	v_mul_u32_u24_e32 v5, 0xc8, v5
	v_sub_u32_e32 v80, v0, v5
	v_add3_u32 v4, v4, v7, v6
	v_lshlrev_b64 v[3:4], 4, v[3:4]
	v_mov_b32_e32 v0, s9
	v_add_co_u32_e32 v3, vcc, s8, v3
	v_addc_co_u32_e32 v4, vcc, v0, v4, vcc
	v_lshlrev_b64 v[0:1], 4, v[1:2]
	v_lshlrev_b32_e32 v81, 4, v80
	v_add_co_u32_e32 v0, vcc, v3, v0
	v_addc_co_u32_e32 v1, vcc, v4, v1, vcc
	v_add_co_u32_e32 v72, vcc, v0, v81
	v_addc_co_u32_e32 v73, vcc, 0, v1, vcc
	s_movk_i32 s6, 0x1000
	v_add_co_u32_e32 v16, vcc, s6, v72
	v_addc_co_u32_e32 v17, vcc, 0, v73, vcc
	s_movk_i32 s6, 0x2000
	v_add_co_u32_e32 v18, vcc, s6, v72
	s_movk_i32 s7, 0x3000
	v_addc_co_u32_e32 v19, vcc, 0, v73, vcc
	v_add_co_u32_e32 v24, vcc, s7, v72
	v_addc_co_u32_e32 v25, vcc, 0, v73, vcc
	s_movk_i32 s6, 0x4000
	v_add_co_u32_e32 v32, vcc, s6, v72
	s_movk_i32 s7, 0x5000
	v_addc_co_u32_e32 v33, vcc, 0, v73, vcc
	v_add_co_u32_e32 v34, vcc, s7, v72
	v_addc_co_u32_e32 v35, vcc, 0, v73, vcc
	s_movk_i32 s6, 0x6000
	v_add_co_u32_e32 v40, vcc, s6, v72
	v_addc_co_u32_e32 v41, vcc, 0, v73, vcc
	s_movk_i32 s6, 0x7000
	v_add_co_u32_e32 v48, vcc, s6, v72
	v_addc_co_u32_e32 v49, vcc, 0, v73, vcc
	s_mov_b32 s6, 0x8000
	v_add_co_u32_e32 v50, vcc, s6, v72
	v_addc_co_u32_e32 v51, vcc, 0, v73, vcc
	s_mov_b32 s6, 0x9000
	;; [unrolled: 3-line block ×5, first 2 shown]
	v_add_co_u32_e32 v74, vcc, s6, v72
	v_addc_co_u32_e32 v75, vcc, 0, v73, vcc
	v_add_co_u32_e32 v76, vcc, 0xd000, v72
	v_addc_co_u32_e32 v77, vcc, 0, v73, vcc
	;; [unrolled: 2-line block ×3, first 2 shown]
	global_load_dwordx4 v[0:3], v[72:73], off
	global_load_dwordx4 v[4:7], v[72:73], off offset:3200
	global_load_dwordx4 v[8:11], v[16:17], off offset:2304
	;; [unrolled: 1-line block ×3, first 2 shown]
	s_nop 0
	global_load_dwordx4 v[16:19], v[24:25], off offset:512
	global_load_dwordx4 v[20:23], v[24:25], off offset:3712
	s_nop 0
	global_load_dwordx4 v[24:27], v[32:33], off offset:2816
	global_load_dwordx4 v[28:31], v[34:35], off offset:1920
	;; [unrolled: 3-line block ×8, first 2 shown]
	v_add_u32_e32 v81, 0, v81
	v_add_u32_e32 v86, 0xc8, v80
	;; [unrolled: 1-line block ×5, first 2 shown]
	s_waitcnt vmcnt(19)
	ds_write_b128 v81, v[0:3]
	s_waitcnt vmcnt(18)
	ds_write_b128 v81, v[4:7] offset:3200
	s_waitcnt vmcnt(17)
	ds_write_b128 v81, v[8:11] offset:6400
	;; [unrolled: 2-line block ×19, first 2 shown]
.LBB0_13:
	s_or_b64 exec, exec, s[4:5]
	v_lshlrev_b32_e32 v81, 4, v80
	v_add_u32_e32 v97, 0, v81
	s_load_dwordx2 s[2:3], s[2:3], 0x0
	s_waitcnt lgkmcnt(0)
	s_barrier
	ds_read_b128 v[48:51], v97
	ds_read_b128 v[52:55], v97 offset:12800
	ds_read_b128 v[56:59], v97 offset:38400
	;; [unrolled: 1-line block ×10, first 2 shown]
	s_waitcnt lgkmcnt(9)
	v_add_f64 v[16:17], v[48:49], v[52:53]
	s_mov_b32 s4, 0x134454ff
	s_waitcnt lgkmcnt(5)
	v_add_f64 v[24:25], v[66:67], v[56:57]
	s_waitcnt lgkmcnt(2)
	v_add_f64 v[74:75], v[54:55], -v[72:73]
	v_add_f64 v[95:96], v[52:53], v[70:71]
	s_mov_b32 s5, 0x3fee6f0e
	s_mov_b32 s7, 0xbfee6f0e
	;; [unrolled: 1-line block ×3, first 2 shown]
	v_add_f64 v[28:29], v[16:17], v[66:67]
	v_add_f64 v[91:92], v[68:69], -v[58:59]
	v_fma_f64 v[62:63], v[24:25], -0.5, v[48:49]
	v_add_f64 v[93:94], v[52:53], -v[66:67]
	v_add_f64 v[106:107], v[70:71], -v[56:57]
	v_fma_f64 v[48:49], v[95:96], -0.5, v[48:49]
	s_mov_b32 s8, 0x4755a5e
	s_mov_b32 s9, 0x3fe2cf23
	;; [unrolled: 1-line block ×4, first 2 shown]
	v_fma_f64 v[64:65], v[74:75], s[4:5], v[62:63]
	v_fma_f64 v[62:63], v[74:75], s[6:7], v[62:63]
	v_add_f64 v[60:61], v[28:29], v[56:57]
	v_add_f64 v[93:94], v[93:94], v[106:107]
	;; [unrolled: 1-line block ×3, first 2 shown]
	v_fma_f64 v[106:107], v[91:92], s[6:7], v[48:49]
	v_add_f64 v[108:109], v[66:67], -v[52:53]
	v_add_f64 v[110:111], v[56:57], -v[70:71]
	v_fma_f64 v[64:65], v[91:92], s[8:9], v[64:65]
	v_fma_f64 v[62:63], v[91:92], s[14:15], v[62:63]
	;; [unrolled: 1-line block ×3, first 2 shown]
	v_add_f64 v[91:92], v[50:51], v[54:55]
	s_mov_b32 s16, 0x372fe950
	s_mov_b32 s17, 0x3fd3c6ef
	v_add_f64 v[60:61], v[60:61], v[70:71]
	v_fma_f64 v[95:96], v[95:96], -0.5, v[50:51]
	v_add_f64 v[52:53], v[52:53], -v[70:71]
	v_fma_f64 v[64:65], v[93:94], s[16:17], v[64:65]
	v_fma_f64 v[62:63], v[93:94], s[16:17], v[62:63]
	;; [unrolled: 1-line block ×3, first 2 shown]
	v_add_f64 v[93:94], v[108:109], v[110:111]
	v_add_f64 v[106:107], v[54:55], v[72:73]
	v_fma_f64 v[48:49], v[74:75], s[14:15], v[48:49]
	v_add_f64 v[74:75], v[91:92], v[68:69]
	ds_read_b128 v[98:101], v97 offset:19200
	ds_read_b128 v[20:23], v97 offset:16000
	;; [unrolled: 1-line block ×7, first 2 shown]
	v_fma_f64 v[91:92], v[52:53], s[6:7], v[95:96]
	v_add_f64 v[56:57], v[66:67], -v[56:57]
	v_add_f64 v[108:109], v[54:55], -v[68:69]
	;; [unrolled: 1-line block ×3, first 2 shown]
	v_fma_f64 v[66:67], v[93:94], s[16:17], v[70:71]
	v_fma_f64 v[50:51], v[106:107], -0.5, v[50:51]
	v_fma_f64 v[70:71], v[93:94], s[16:17], v[48:49]
	v_add_f64 v[48:49], v[74:75], v[58:59]
	s_waitcnt lgkmcnt(6)
	v_add_f64 v[74:75], v[76:77], v[98:99]
	s_waitcnt lgkmcnt(1)
	v_add_f64 v[93:94], v[102:103], v[44:45]
	v_fma_f64 v[95:96], v[52:53], s[4:5], v[95:96]
	ds_read_b128 v[36:39], v97 offset:57600
	ds_read_b128 v[32:35], v97 offset:54400
	v_fma_f64 v[91:92], v[56:57], s[14:15], v[91:92]
	v_add_f64 v[106:107], v[108:109], v[110:111]
	v_fma_f64 v[108:109], v[56:57], s[4:5], v[50:51]
	v_add_f64 v[54:55], v[68:69], -v[54:55]
	v_add_f64 v[58:59], v[58:59], -v[72:73]
	v_add_f64 v[68:69], v[74:75], v[102:103]
	v_fma_f64 v[110:111], v[93:94], -0.5, v[76:77]
	s_waitcnt lgkmcnt(1)
	v_add_f64 v[112:113], v[100:101], -v[38:39]
	v_add_f64 v[74:75], v[48:49], v[72:73]
	v_fma_f64 v[48:49], v[56:57], s[8:9], v[95:96]
	v_fma_f64 v[93:94], v[106:107], s[16:17], v[91:92]
	;; [unrolled: 1-line block ×3, first 2 shown]
	v_add_f64 v[54:55], v[54:55], v[58:59]
	v_fma_f64 v[50:51], v[56:57], s[6:7], v[50:51]
	v_add_f64 v[56:57], v[68:69], v[44:45]
	v_fma_f64 v[58:59], v[112:113], s[4:5], v[110:111]
	v_add_f64 v[68:69], v[104:105], -v[46:47]
	v_add_f64 v[108:109], v[98:99], -v[102:103]
	;; [unrolled: 1-line block ×3, first 2 shown]
	v_fma_f64 v[91:92], v[106:107], s[16:17], v[48:49]
	v_add_f64 v[48:49], v[98:99], v[36:37]
	v_add_f64 v[106:107], v[100:101], v[38:39]
	v_fma_f64 v[95:96], v[54:55], s[16:17], v[72:73]
	v_fma_f64 v[50:51], v[52:53], s[8:9], v[50:51]
	v_add_f64 v[72:73], v[56:57], v[36:37]
	v_add_f64 v[52:53], v[104:105], v[46:47]
	v_fma_f64 v[56:57], v[68:69], s[8:9], v[58:59]
	v_add_f64 v[58:59], v[108:109], v[114:115]
	v_fma_f64 v[108:109], v[112:113], s[6:7], v[110:111]
	v_fma_f64 v[48:49], v[48:49], -0.5, v[76:77]
	v_add_f64 v[76:77], v[102:103], -v[98:99]
	v_add_f64 v[110:111], v[44:45], -v[36:37]
	;; [unrolled: 1-line block ×4, first 2 shown]
	v_fma_f64 v[98:99], v[106:107], -0.5, v[78:79]
	v_fma_f64 v[52:53], v[52:53], -0.5, v[78:79]
	v_fma_f64 v[102:103], v[68:69], s[14:15], v[108:109]
	v_fma_f64 v[106:107], v[68:69], s[6:7], v[48:49]
	v_fma_f64 v[48:49], v[68:69], s[4:5], v[48:49]
	v_add_f64 v[68:69], v[78:79], v[100:101]
	v_add_f64 v[76:77], v[76:77], v[110:111]
	v_add_f64 v[110:111], v[104:105], -v[100:101]
	v_fma_f64 v[108:109], v[44:45], s[4:5], v[98:99]
	v_add_f64 v[114:115], v[46:47], -v[38:39]
	v_fma_f64 v[78:79], v[36:37], s[6:7], v[52:53]
	v_add_f64 v[100:101], v[100:101], -v[104:105]
	v_add_f64 v[116:117], v[38:39], -v[46:47]
	v_fma_f64 v[98:99], v[44:45], s[6:7], v[98:99]
	v_add_f64 v[68:69], v[68:69], v[104:105]
	v_fma_f64 v[52:53], v[36:37], s[4:5], v[52:53]
	v_fma_f64 v[104:105], v[36:37], s[14:15], v[108:109]
	v_add_f64 v[108:109], v[110:111], v[114:115]
	v_fma_f64 v[56:57], v[58:59], s[16:17], v[56:57]
	v_fma_f64 v[106:107], v[112:113], s[8:9], v[106:107]
	v_fma_f64 v[48:49], v[112:113], s[14:15], v[48:49]
	v_fma_f64 v[78:79], v[44:45], s[14:15], v[78:79]
	v_add_f64 v[100:101], v[100:101], v[116:117]
	v_fma_f64 v[36:37], v[36:37], s[8:9], v[98:99]
	v_add_f64 v[46:47], v[68:69], v[46:47]
	v_fma_f64 v[58:59], v[58:59], s[16:17], v[102:103]
	v_fma_f64 v[102:103], v[108:109], s[16:17], v[104:105]
	;; [unrolled: 1-line block ×3, first 2 shown]
	s_mov_b32 s18, 0x9b97f4a8
	s_mov_b32 s19, 0x3fe9e377
	v_fma_f64 v[98:99], v[76:77], s[16:17], v[106:107]
	v_fma_f64 v[76:77], v[76:77], s[16:17], v[48:49]
	;; [unrolled: 1-line block ×4, first 2 shown]
	v_mul_f64 v[52:53], v[56:57], s[18:19]
	v_add_f64 v[108:109], v[46:47], v[38:39]
	v_mul_f64 v[46:47], v[56:57], s[14:15]
	v_mul_f64 v[78:79], v[102:103], s[4:5]
	v_fma_f64 v[38:39], v[100:101], s[16:17], v[44:45]
	v_mul_f64 v[44:45], v[58:59], s[18:19]
	v_mul_f64 v[104:105], v[76:77], s[16:17]
	v_fma_f64 v[106:107], v[54:55], s[16:17], v[50:51]
	v_fma_f64 v[100:101], v[68:69], s[8:9], v[52:53]
	v_mul_f64 v[50:51], v[98:99], s[6:7]
	v_mul_f64 v[52:53], v[48:49], s[16:17]
	v_fma_f64 v[110:111], v[68:69], s[18:19], v[46:47]
	v_add_f64 v[68:69], v[40:41], v[20:21]
	v_add_f64 v[116:117], v[24:25], v[28:29]
	v_fma_f64 v[78:79], v[98:99], s[16:17], v[78:79]
	v_fma_f64 v[98:99], v[38:39], s[8:9], -v[44:45]
	v_add_f64 v[36:37], v[60:61], v[72:73]
	v_fma_f64 v[104:105], v[48:49], s[4:5], -v[104:105]
	v_mul_f64 v[54:55], v[38:39], s[18:19]
	v_add_f64 v[56:57], v[64:65], v[100:101]
	v_fma_f64 v[102:103], v[102:103], s[16:17], v[50:51]
	v_fma_f64 v[112:113], v[76:77], s[6:7], -v[52:53]
	v_add_f64 v[76:77], v[60:61], -v[72:73]
	v_add_f64 v[72:73], v[64:65], -v[100:101]
	v_add_f64 v[100:101], v[68:69], v[24:25]
	v_fma_f64 v[116:117], v[116:117], -0.5, v[40:41]
	s_waitcnt lgkmcnt(0)
	v_add_f64 v[118:119], v[22:23], -v[34:35]
	v_add_f64 v[52:53], v[62:63], v[98:99]
	v_add_f64 v[60:61], v[62:63], -v[98:99]
	v_add_f64 v[62:63], v[20:21], v[32:33]
	v_add_f64 v[48:49], v[66:67], v[78:79]
	v_add_f64 v[44:45], v[70:71], v[104:105]
	v_fma_f64 v[114:115], v[58:59], s[14:15], -v[54:55]
	v_add_f64 v[38:39], v[74:75], v[108:109]
	v_add_f64 v[58:59], v[93:94], v[110:111]
	;; [unrolled: 1-line block ×3, first 2 shown]
	v_add_f64 v[68:69], v[66:67], -v[78:79]
	v_add_f64 v[64:65], v[70:71], -v[104:105]
	;; [unrolled: 1-line block ×4, first 2 shown]
	v_add_f64 v[93:94], v[100:101], v[28:29]
	v_fma_f64 v[98:99], v[118:119], s[4:5], v[116:117]
	v_add_f64 v[100:101], v[26:27], -v[30:31]
	v_add_f64 v[70:71], v[95:96], -v[102:103]
	;; [unrolled: 1-line block ×4, first 2 shown]
	v_fma_f64 v[40:41], v[62:63], -0.5, v[40:41]
	v_add_f64 v[54:55], v[91:92], v[114:115]
	v_add_f64 v[62:63], v[91:92], -v[114:115]
	v_add_f64 v[91:92], v[93:94], v[32:33]
	v_fma_f64 v[93:94], v[100:101], s[8:9], v[98:99]
	v_add_f64 v[104:105], v[26:27], v[30:31]
	v_add_f64 v[46:47], v[106:107], v[112:113]
	;; [unrolled: 1-line block ×3, first 2 shown]
	v_fma_f64 v[102:103], v[118:119], s[6:7], v[116:117]
	v_add_f64 v[66:67], v[106:107], -v[112:113]
	v_fma_f64 v[106:107], v[100:101], s[6:7], v[40:41]
	v_add_f64 v[98:99], v[42:43], v[22:23]
	v_add_f64 v[108:109], v[24:25], -v[20:21]
	v_add_f64 v[110:111], v[28:29], -v[32:33]
	v_fma_f64 v[40:41], v[100:101], s[4:5], v[40:41]
	v_fma_f64 v[104:105], v[104:105], -0.5, v[42:43]
	v_add_f64 v[20:21], v[20:21], -v[32:33]
	v_fma_f64 v[32:33], v[95:96], s[16:17], v[93:94]
	v_fma_f64 v[93:94], v[100:101], s[14:15], v[102:103]
	;; [unrolled: 1-line block ×3, first 2 shown]
	v_add_f64 v[106:107], v[22:23], v[34:35]
	v_add_f64 v[98:99], v[98:99], v[26:27]
	;; [unrolled: 1-line block ×3, first 2 shown]
	v_fma_f64 v[40:41], v[118:119], s[14:15], v[40:41]
	v_fma_f64 v[108:109], v[20:21], s[6:7], v[104:105]
	v_add_f64 v[24:25], v[24:25], -v[28:29]
	v_fma_f64 v[93:94], v[95:96], s[16:17], v[93:94]
	v_add_f64 v[28:29], v[22:23], -v[26:27]
	v_add_f64 v[95:96], v[34:35], -v[30:31]
	v_fma_f64 v[42:43], v[106:107], -0.5, v[42:43]
	v_add_f64 v[98:99], v[98:99], v[30:31]
	v_fma_f64 v[100:101], v[102:103], s[16:17], v[100:101]
	v_fma_f64 v[102:103], v[102:103], s[16:17], v[40:41]
	;; [unrolled: 1-line block ×3, first 2 shown]
	v_add_f64 v[106:107], v[4:5], v[12:13]
	v_add_f64 v[108:109], v[8:9], v[16:17]
	;; [unrolled: 1-line block ×3, first 2 shown]
	v_fma_f64 v[95:96], v[20:21], s[4:5], v[104:105]
	v_fma_f64 v[104:105], v[24:25], s[4:5], v[42:43]
	v_add_f64 v[22:23], v[26:27], -v[22:23]
	v_add_f64 v[26:27], v[30:31], -v[34:35]
	v_fma_f64 v[30:31], v[24:25], s[6:7], v[42:43]
	v_add_f64 v[98:99], v[98:99], v[34:35]
	v_add_f64 v[34:35], v[106:107], v[8:9]
	v_fma_f64 v[42:43], v[108:109], -0.5, v[4:5]
	v_add_f64 v[106:107], v[14:15], -v[2:3]
	v_fma_f64 v[24:25], v[24:25], s[8:9], v[95:96]
	v_fma_f64 v[108:109], v[28:29], s[16:17], v[40:41]
	;; [unrolled: 1-line block ×3, first 2 shown]
	v_add_f64 v[22:23], v[22:23], v[26:27]
	v_fma_f64 v[20:21], v[20:21], s[8:9], v[30:31]
	v_add_f64 v[26:27], v[12:13], v[0:1]
	v_add_f64 v[30:31], v[34:35], v[16:17]
	v_fma_f64 v[34:35], v[106:107], s[4:5], v[42:43]
	v_add_f64 v[95:96], v[10:11], -v[18:19]
	v_add_f64 v[104:105], v[12:13], -v[8:9]
	;; [unrolled: 1-line block ×3, first 2 shown]
	v_fma_f64 v[112:113], v[28:29], s[16:17], v[24:25]
	v_add_f64 v[28:29], v[14:15], v[2:3]
	v_fma_f64 v[114:115], v[22:23], s[16:17], v[40:41]
	v_fma_f64 v[4:5], v[26:27], -0.5, v[4:5]
	v_fma_f64 v[116:117], v[22:23], s[16:17], v[20:21]
	v_add_f64 v[22:23], v[10:11], v[18:19]
	v_add_f64 v[20:21], v[30:31], v[0:1]
	v_fma_f64 v[24:25], v[95:96], s[8:9], v[34:35]
	v_add_f64 v[26:27], v[104:105], v[110:111]
	v_fma_f64 v[30:31], v[106:107], s[6:7], v[42:43]
	v_add_f64 v[40:41], v[8:9], -v[12:13]
	v_add_f64 v[42:43], v[16:17], -v[0:1]
	;; [unrolled: 1-line block ×4, first 2 shown]
	v_fma_f64 v[12:13], v[28:29], -0.5, v[6:7]
	v_fma_f64 v[34:35], v[95:96], s[6:7], v[4:5]
	v_fma_f64 v[22:23], v[22:23], -0.5, v[6:7]
	v_add_f64 v[6:7], v[6:7], v[14:15]
	v_fma_f64 v[16:17], v[26:27], s[16:17], v[24:25]
	v_fma_f64 v[24:25], v[95:96], s[14:15], v[30:31]
	v_add_f64 v[30:31], v[40:41], v[42:43]
	v_fma_f64 v[4:5], v[95:96], s[4:5], v[4:5]
	v_fma_f64 v[40:41], v[8:9], s[4:5], v[12:13]
	v_add_f64 v[42:43], v[10:11], -v[14:15]
	v_add_f64 v[95:96], v[18:19], -v[2:3]
	v_fma_f64 v[28:29], v[106:107], s[8:9], v[34:35]
	v_fma_f64 v[34:35], v[0:1], s[6:7], v[22:23]
	v_add_f64 v[14:15], v[14:15], -v[10:11]
	v_add_f64 v[104:105], v[2:3], -v[18:19]
	v_add_f64 v[6:7], v[6:7], v[10:11]
	v_fma_f64 v[10:11], v[0:1], s[4:5], v[22:23]
	v_fma_f64 v[12:13], v[8:9], s[6:7], v[12:13]
	;; [unrolled: 1-line block ×3, first 2 shown]
	v_add_f64 v[40:41], v[42:43], v[95:96]
	v_fma_f64 v[4:5], v[106:107], s[14:15], v[4:5]
	v_fma_f64 v[34:35], v[8:9], s[14:15], v[34:35]
	v_add_f64 v[14:15], v[14:15], v[104:105]
	v_add_f64 v[6:7], v[6:7], v[18:19]
	v_fma_f64 v[8:9], v[8:9], s[8:9], v[10:11]
	v_fma_f64 v[0:1], v[0:1], s[8:9], v[12:13]
	;; [unrolled: 1-line block ×7, first 2 shown]
	v_add_f64 v[6:7], v[6:7], v[2:3]
	v_fma_f64 v[2:3], v[14:15], s[16:17], v[8:9]
	v_fma_f64 v[8:9], v[40:41], s[16:17], v[0:1]
	v_mul_f64 v[22:23], v[16:17], s[18:19]
	v_mul_f64 v[16:17], v[16:17], s[14:15]
	;; [unrolled: 1-line block ×8, first 2 shown]
	v_fma_f64 v[22:23], v[18:19], s[8:9], v[22:23]
	v_fma_f64 v[104:105], v[18:19], s[18:19], v[16:17]
	;; [unrolled: 1-line block ×4, first 2 shown]
	v_fma_f64 v[42:43], v[8:9], s[4:5], -v[26:27]
	v_fma_f64 v[95:96], v[2:3], s[8:9], -v[28:29]
	v_fma_f64 v[118:119], v[24:25], s[14:15], -v[40:41]
	v_fma_f64 v[110:111], v[4:5], s[6:7], -v[34:35]
	v_add_f64 v[0:1], v[91:92], v[20:21]
	v_add_f64 v[2:3], v[98:99], v[6:7]
	;; [unrolled: 1-line block ×10, first 2 shown]
	s_movk_i32 s20, 0x90
	v_add_f64 v[40:41], v[91:92], -v[20:21]
	v_add_f64 v[12:13], v[102:103], -v[42:43]
	;; [unrolled: 1-line block ×3, first 2 shown]
	v_mad_u32_u24 v87, v80, s20, v97
	v_add_f64 v[32:33], v[32:33], -v[22:23]
	v_add_f64 v[34:35], v[108:109], -v[104:105]
	s_barrier
	ds_write_b128 v87, v[36:39]
	ds_write_b128 v87, v[56:59] offset:16
	ds_write_b128 v87, v[48:51] offset:32
	;; [unrolled: 1-line block ×9, first 2 shown]
	v_mul_i32_i24_e32 v36, 10, v86
	v_add_f64 v[20:21], v[100:101], -v[14:15]
	v_add_f64 v[4:5], v[93:94], -v[95:96]
	v_add_f64 v[22:23], v[114:115], -v[106:107]
	v_lshl_add_u32 v95, v36, 4, 0
	s_movk_i32 s20, 0xcd
	v_add_f64 v[14:15], v[116:117], -v[110:111]
	v_add_f64 v[6:7], v[112:113], -v[118:119]
	ds_write_b128 v95, v[0:3]
	ds_write_b128 v95, v[28:31] offset:16
	ds_write_b128 v95, v[24:27] offset:32
	;; [unrolled: 1-line block ×9, first 2 shown]
	v_mul_lo_u16_sdwa v0, v80, s20 dst_sel:DWORD dst_unused:UNUSED_PAD src0_sel:BYTE_0 src1_sel:DWORD
	v_lshrrev_b16_e32 v102, 11, v0
	v_mul_lo_u16_e32 v0, 10, v102
	v_sub_u16_e32 v99, v80, v0
	v_mov_b32_e32 v0, 9
	v_mul_u32_u24_sdwa v0, v99, v0 dst_sel:DWORD dst_unused:UNUSED_PAD src0_sel:BYTE_0 src1_sel:DWORD
	v_lshlrev_b32_e32 v0, 4, v0
	s_waitcnt lgkmcnt(0)
	s_barrier
	global_load_dwordx4 v[4:7], v0, s[12:13]
	global_load_dwordx4 v[8:11], v0, s[12:13] offset:16
	global_load_dwordx4 v[16:19], v0, s[12:13] offset:32
	;; [unrolled: 1-line block ×8, first 2 shown]
	s_mov_b32 s20, 0xcccd
	v_mul_u32_u24_sdwa v0, v86, s20 dst_sel:DWORD dst_unused:UNUSED_PAD src0_sel:WORD_0 src1_sel:DWORD
	v_lshrrev_b32_e32 v100, 19, v0
	v_mul_lo_u16_e32 v0, 10, v100
	v_sub_u16_e32 v101, v86, v0
	v_mul_u32_u24_e32 v0, 9, v101
	v_lshlrev_b32_e32 v137, 4, v0
	global_load_dwordx4 v[44:47], v137, s[12:13]
	global_load_dwordx4 v[48:51], v137, s[12:13] offset:16
	global_load_dwordx4 v[54:57], v137, s[12:13] offset:32
	v_lshl_add_u32 v98, v90, 4, 0
	ds_read_b128 v[12:15], v98
	ds_read_b128 v[58:61], v97 offset:32000
	v_lshl_add_u32 v96, v88, 4, 0
	s_movk_i32 s20, 0xff70
	v_mad_i32_i24 v87, v86, s20, v95
	ds_read_b128 v[62:65], v96
	ds_read_b128 v[0:3], v87
	ds_read_b128 v[66:69], v97 offset:19200
	ds_read_b128 v[70:73], v97 offset:22400
	;; [unrolled: 1-line block ×8, first 2 shown]
	s_movk_i32 s20, 0x64
	v_cmp_gt_u32_e32 vcc, s20, v80
	s_waitcnt vmcnt(11) lgkmcnt(11)
	v_mul_f64 v[52:53], v[14:15], v[6:7]
	v_mul_f64 v[6:7], v[12:13], v[6:7]
	s_waitcnt vmcnt(10) lgkmcnt(9)
	v_mul_f64 v[78:79], v[64:65], v[10:11]
	v_mul_f64 v[10:11], v[62:63], v[10:11]
	s_waitcnt vmcnt(9) lgkmcnt(7)
	v_mul_f64 v[119:120], v[68:69], v[18:19]
	v_fma_f64 v[12:13], v[12:13], v[4:5], -v[52:53]
	v_fma_f64 v[6:7], v[14:15], v[4:5], v[6:7]
	v_mul_f64 v[4:5], v[66:67], v[18:19]
	v_fma_f64 v[123:124], v[62:63], v[8:9], -v[78:79]
	v_fma_f64 v[125:126], v[64:65], v[8:9], v[10:11]
	s_waitcnt vmcnt(8) lgkmcnt(5)
	v_mul_f64 v[10:11], v[76:77], v[22:23]
	v_mul_f64 v[18:19], v[74:75], v[22:23]
	s_waitcnt vmcnt(7)
	v_mul_f64 v[22:23], v[60:61], v[26:27]
	v_fma_f64 v[14:15], v[66:67], v[16:17], -v[119:120]
	ds_read_b128 v[62:65], v97 offset:51200
	ds_read_b128 v[119:122], v97 offset:48000
	v_fma_f64 v[8:9], v[68:69], v[16:17], v[4:5]
	v_mul_f64 v[4:5], v[58:59], v[26:27]
	s_waitcnt vmcnt(6) lgkmcnt(5)
	v_mul_f64 v[16:17], v[105:106], v[30:31]
	v_fma_f64 v[127:128], v[74:75], v[20:21], -v[10:11]
	v_fma_f64 v[129:130], v[76:77], v[20:21], v[18:19]
	v_mul_f64 v[20:21], v[103:104], v[30:31]
	v_fma_f64 v[18:19], v[58:59], v[24:25], -v[22:23]
	s_waitcnt vmcnt(4) lgkmcnt(1)
	v_mul_f64 v[30:31], v[64:65], v[38:39]
	v_fma_f64 v[10:11], v[60:61], v[24:25], v[4:5]
	v_mul_f64 v[4:5], v[113:114], v[34:35]
	ds_read_b128 v[22:25], v97 offset:57600
	v_fma_f64 v[131:132], v[103:104], v[28:29], -v[16:17]
	v_mul_f64 v[16:17], v[111:112], v[34:35]
	v_mul_f64 v[34:35], v[62:63], v[38:39]
	v_fma_f64 v[133:134], v[105:106], v[28:29], v[20:21]
	ds_read_b128 v[26:29], v97 offset:54400
	s_waitcnt vmcnt(3) lgkmcnt(1)
	v_mul_f64 v[38:39], v[22:23], v[42:43]
	v_fma_f64 v[20:21], v[111:112], v[32:33], -v[4:5]
	v_mul_f64 v[4:5], v[24:25], v[42:43]
	v_fma_f64 v[42:43], v[62:63], v[36:37], -v[30:31]
	v_fma_f64 v[16:17], v[113:114], v[32:33], v[16:17]
	v_fma_f64 v[135:136], v[64:65], v[36:37], v[34:35]
	global_load_dwordx4 v[30:33], v137, s[12:13] offset:48
	ds_read_b128 v[34:37], v97 offset:9600
	ds_read_b128 v[58:61], v97 offset:16000
	global_load_dwordx4 v[76:79], v137, s[12:13] offset:80
	v_add_f64 v[66:67], v[127:128], v[131:132]
	v_fma_f64 v[22:23], v[22:23], v[40:41], -v[4:5]
	v_fma_f64 v[4:5], v[24:25], v[40:41], v[38:39]
	s_waitcnt vmcnt(4) lgkmcnt(1)
	v_mul_f64 v[24:25], v[36:37], v[46:47]
	v_mul_f64 v[52:53], v[34:35], v[46:47]
	global_load_dwordx4 v[38:41], v137, s[12:13] offset:64
	v_fma_f64 v[46:47], v[34:35], v[44:45], -v[24:25]
	v_fma_f64 v[44:45], v[36:37], v[44:45], v[52:53]
	global_load_dwordx4 v[34:37], v137, s[12:13] offset:96
	global_load_dwordx4 v[103:106], v137, s[12:13] offset:112
	;; [unrolled: 1-line block ×3, first 2 shown]
	s_waitcnt vmcnt(7) lgkmcnt(0)
	v_mul_f64 v[24:25], v[60:61], v[50:51]
	v_mul_f64 v[50:51], v[58:59], v[50:51]
	v_fma_f64 v[64:65], v[58:59], v[48:49], -v[24:25]
	s_waitcnt vmcnt(6)
	v_mul_f64 v[24:25], v[72:73], v[56:57]
	v_fma_f64 v[60:61], v[60:61], v[48:49], v[50:51]
	v_mul_f64 v[48:49], v[70:71], v[56:57]
	v_fma_f64 v[52:53], v[70:71], v[54:55], -v[24:25]
	v_fma_f64 v[48:49], v[72:73], v[54:55], v[48:49]
	s_waitcnt vmcnt(5)
	v_mul_f64 v[24:25], v[93:94], v[32:33]
	v_mul_f64 v[32:33], v[91:92], v[32:33]
	s_waitcnt vmcnt(4)
	v_mul_f64 v[56:57], v[115:116], v[78:79]
	s_waitcnt vmcnt(3)
	v_mul_f64 v[50:51], v[109:110], v[40:41]
	v_mul_f64 v[40:41], v[107:108], v[40:41]
	v_fma_f64 v[72:73], v[91:92], v[30:31], -v[24:25]
	v_mul_f64 v[24:25], v[117:118], v[78:79]
	v_fma_f64 v[68:69], v[93:94], v[30:31], v[32:33]
	v_fma_f64 v[70:71], v[117:118], v[76:77], v[56:57]
	v_add_f64 v[93:94], v[125:126], -v[135:136]
	v_add_f64 v[117:118], v[14:15], v[22:23]
	s_waitcnt vmcnt(2)
	v_mul_f64 v[58:59], v[121:122], v[36:37]
	v_mul_f64 v[36:37], v[119:120], v[36:37]
	v_fma_f64 v[54:55], v[107:108], v[38:39], -v[50:51]
	v_fma_f64 v[50:51], v[109:110], v[38:39], v[40:41]
	ds_read_b128 v[38:41], v97
	ds_read_b128 v[30:33], v97 offset:60800
	v_fma_f64 v[74:75], v[115:116], v[76:77], -v[24:25]
	v_add_f64 v[115:116], v[8:9], -v[4:5]
	s_waitcnt lgkmcnt(0)
	v_add_f64 v[24:25], v[38:39], v[123:124]
	v_fma_f64 v[62:63], v[119:120], v[34:35], -v[58:59]
	v_fma_f64 v[56:57], v[121:122], v[34:35], v[36:37]
	s_waitcnt vmcnt(1)
	v_mul_f64 v[34:35], v[28:29], v[105:106]
	v_mul_f64 v[36:37], v[26:27], v[105:106]
	v_fma_f64 v[91:92], v[66:67], -0.5, v[38:39]
	s_waitcnt vmcnt(0)
	v_mul_f64 v[58:59], v[32:33], v[113:114]
	v_add_f64 v[105:106], v[123:124], v[42:43]
	v_mul_f64 v[107:108], v[30:31], v[113:114]
	v_add_f64 v[24:25], v[24:25], v[127:128]
	v_add_f64 v[113:114], v[133:134], -v[135:136]
	v_fma_f64 v[78:79], v[26:27], v[103:104], -v[34:35]
	v_fma_f64 v[76:77], v[28:29], v[103:104], v[36:37]
	v_fma_f64 v[26:27], v[93:94], s[4:5], v[91:92]
	v_add_f64 v[28:29], v[129:130], -v[133:134]
	v_fma_f64 v[66:67], v[30:31], v[111:112], -v[58:59]
	v_fma_f64 v[30:31], v[105:106], -0.5, v[38:39]
	v_fma_f64 v[58:59], v[32:33], v[111:112], v[107:108]
	v_add_f64 v[32:33], v[123:124], -v[127:128]
	v_add_f64 v[34:35], v[42:43], -v[131:132]
	v_fma_f64 v[36:37], v[93:94], s[6:7], v[91:92]
	v_add_f64 v[38:39], v[129:130], v[133:134]
	v_add_f64 v[24:25], v[24:25], v[131:132]
	v_fma_f64 v[26:27], v[28:29], s[8:9], v[26:27]
	v_fma_f64 v[91:92], v[28:29], s[6:7], v[30:31]
	v_add_f64 v[103:104], v[127:128], -v[123:124]
	v_add_f64 v[105:106], v[131:132], -v[42:43]
	v_add_f64 v[32:33], v[32:33], v[34:35]
	v_fma_f64 v[34:35], v[28:29], s[14:15], v[36:37]
	v_fma_f64 v[30:31], v[28:29], s[4:5], v[30:31]
	v_fma_f64 v[38:39], v[38:39], -0.5, v[40:41]
	v_add_f64 v[107:108], v[123:124], -v[42:43]
	v_add_f64 v[24:25], v[24:25], v[42:43]
	v_add_f64 v[36:37], v[40:41], v[125:126]
	v_fma_f64 v[42:43], v[93:94], s[8:9], v[91:92]
	v_add_f64 v[91:92], v[103:104], v[105:106]
	v_fma_f64 v[28:29], v[32:33], s[16:17], v[26:27]
	v_fma_f64 v[26:27], v[32:33], s[16:17], v[34:35]
	;; [unrolled: 1-line block ×3, first 2 shown]
	v_add_f64 v[34:35], v[125:126], v[135:136]
	v_fma_f64 v[93:94], v[107:108], s[6:7], v[38:39]
	v_add_f64 v[103:104], v[127:128], -v[131:132]
	v_add_f64 v[36:37], v[36:37], v[129:130]
	v_fma_f64 v[32:33], v[91:92], s[16:17], v[42:43]
	v_add_f64 v[42:43], v[125:126], -v[129:130]
	v_add_f64 v[105:106], v[135:136], -v[133:134]
	v_fma_f64 v[38:39], v[107:108], s[4:5], v[38:39]
	v_fma_f64 v[34:35], v[34:35], -0.5, v[40:41]
	v_fma_f64 v[30:31], v[91:92], s[16:17], v[30:31]
	v_fma_f64 v[40:41], v[103:104], s[14:15], v[93:94]
	v_add_f64 v[93:94], v[18:19], v[20:21]
	v_add_f64 v[36:37], v[36:37], v[133:134]
	;; [unrolled: 1-line block ×4, first 2 shown]
	v_fma_f64 v[105:106], v[103:104], s[8:9], v[38:39]
	v_fma_f64 v[109:110], v[103:104], s[4:5], v[34:35]
	v_add_f64 v[111:112], v[129:130], -v[125:126]
	v_fma_f64 v[103:104], v[103:104], s[6:7], v[34:35]
	v_fma_f64 v[93:94], v[93:94], -0.5, v[12:13]
	v_add_f64 v[38:39], v[36:37], v[135:136]
	v_add_f64 v[91:92], v[91:92], v[18:19]
	v_fma_f64 v[34:35], v[42:43], s[16:17], v[40:41]
	v_fma_f64 v[42:43], v[42:43], s[16:17], v[105:106]
	;; [unrolled: 1-line block ×3, first 2 shown]
	v_add_f64 v[40:41], v[111:112], v[113:114]
	v_fma_f64 v[103:104], v[107:108], s[8:9], v[103:104]
	v_fma_f64 v[107:108], v[115:116], s[4:5], v[93:94]
	v_add_f64 v[109:110], v[10:11], -v[16:17]
	v_add_f64 v[105:106], v[91:92], v[20:21]
	v_add_f64 v[111:112], v[14:15], -v[18:19]
	v_add_f64 v[113:114], v[22:23], -v[20:21]
	v_add_f64 v[119:120], v[10:11], v[16:17]
	v_fma_f64 v[91:92], v[40:41], s[16:17], v[36:37]
	v_fma_f64 v[36:37], v[115:116], s[6:7], v[93:94]
	;; [unrolled: 1-line block ×4, first 2 shown]
	v_add_f64 v[107:108], v[8:9], v[4:5]
	v_add_f64 v[40:41], v[105:106], v[22:23]
	;; [unrolled: 1-line block ×3, first 2 shown]
	v_fma_f64 v[12:13], v[117:118], -0.5, v[12:13]
	v_fma_f64 v[111:112], v[119:120], -0.5, v[6:7]
	v_add_f64 v[113:114], v[14:15], -v[22:23]
	v_add_f64 v[117:118], v[18:19], -v[20:21]
	v_add_f64 v[119:120], v[8:9], -v[10:11]
	v_add_f64 v[121:122], v[4:5], -v[16:17]
	v_fma_f64 v[107:108], v[107:108], -0.5, v[6:7]
	v_fma_f64 v[36:37], v[109:110], s[14:15], v[36:37]
	v_add_f64 v[14:15], v[18:19], -v[14:15]
	v_fma_f64 v[18:19], v[109:110], s[6:7], v[12:13]
	v_add_f64 v[20:21], v[20:21], -v[22:23]
	v_fma_f64 v[12:13], v[109:110], s[4:5], v[12:13]
	v_add_f64 v[6:7], v[6:7], v[8:9]
	v_fma_f64 v[22:23], v[113:114], s[6:7], v[111:112]
	v_add_f64 v[109:110], v[119:120], v[121:122]
	v_fma_f64 v[119:120], v[117:118], s[4:5], v[107:108]
	v_add_f64 v[8:9], v[10:11], -v[8:9]
	v_add_f64 v[121:122], v[16:17], -v[4:5]
	v_fma_f64 v[107:108], v[117:118], s[6:7], v[107:108]
	v_add_f64 v[14:15], v[14:15], v[20:21]
	v_add_f64 v[6:7], v[6:7], v[10:11]
	v_fma_f64 v[22:23], v[117:118], s[14:15], v[22:23]
	v_fma_f64 v[10:11], v[113:114], s[4:5], v[111:112]
	;; [unrolled: 1-line block ×4, first 2 shown]
	v_add_f64 v[8:9], v[8:9], v[121:122]
	v_fma_f64 v[18:19], v[115:116], s[8:9], v[18:19]
	v_fma_f64 v[103:104], v[105:106], s[16:17], v[103:104]
	v_add_f64 v[6:7], v[6:7], v[16:17]
	v_fma_f64 v[22:23], v[109:110], s[16:17], v[22:23]
	v_fma_f64 v[10:11], v[117:118], s[8:9], v[10:11]
	;; [unrolled: 1-line block ×7, first 2 shown]
	v_add_f64 v[105:106], v[6:7], v[4:5]
	v_mul_f64 v[18:19], v[22:23], s[8:9]
	v_fma_f64 v[6:7], v[109:110], s[16:17], v[10:11]
	v_fma_f64 v[8:9], v[8:9], s[16:17], v[16:17]
	v_mul_f64 v[16:17], v[36:37], s[18:19]
	v_mul_f64 v[20:21], v[111:112], s[4:5]
	;; [unrolled: 1-line block ×3, first 2 shown]
	v_add_f64 v[121:122], v[0:1], v[64:65]
	v_add_f64 v[4:5], v[24:25], v[40:41]
	v_fma_f64 v[107:108], v[103:104], s[18:19], v[18:19]
	v_mul_f64 v[18:19], v[103:104], s[14:15]
	v_mul_f64 v[103:104], v[8:9], s[16:17]
	;; [unrolled: 1-line block ×3, first 2 shown]
	v_fma_f64 v[109:110], v[14:15], s[16:17], v[20:21]
	v_mul_f64 v[14:15], v[14:15], s[6:7]
	v_fma_f64 v[115:116], v[8:9], s[4:5], -v[10:11]
	v_fma_f64 v[117:118], v[6:7], s[8:9], -v[16:17]
	v_add_f64 v[20:21], v[28:29], v[107:108]
	v_fma_f64 v[119:120], v[22:23], s[18:19], v[18:19]
	v_fma_f64 v[103:104], v[12:13], s[6:7], -v[103:104]
	v_fma_f64 v[113:114], v[36:37], s[14:15], -v[113:114]
	v_add_f64 v[16:17], v[32:33], v[109:110]
	v_fma_f64 v[111:112], v[111:112], s[16:17], v[14:15]
	v_add_f64 v[6:7], v[38:39], v[105:106]
	v_add_f64 v[36:37], v[24:25], -v[40:41]
	v_add_f64 v[28:29], v[28:29], -v[107:108]
	;; [unrolled: 1-line block ×3, first 2 shown]
	v_add_f64 v[107:108], v[121:122], v[72:73]
	v_add_f64 v[109:110], v[72:73], v[74:75]
	v_add_f64 v[38:39], v[38:39], -v[105:106]
	v_add_f64 v[105:106], v[64:65], v[78:79]
	v_add_f64 v[12:13], v[30:31], v[115:116]
	;; [unrolled: 1-line block ×6, first 2 shown]
	v_add_f64 v[32:33], v[30:31], -v[115:116]
	v_add_f64 v[40:41], v[26:27], -v[117:118]
	;; [unrolled: 1-line block ×4, first 2 shown]
	v_add_f64 v[91:92], v[107:108], v[74:75]
	v_fma_f64 v[107:108], v[109:110], -0.5, v[0:1]
	v_add_f64 v[109:110], v[60:61], -v[76:77]
	v_add_f64 v[111:112], v[68:69], -v[70:71]
	v_fma_f64 v[0:1], v[105:106], -0.5, v[0:1]
	v_add_f64 v[34:35], v[93:94], -v[103:104]
	v_add_f64 v[93:94], v[64:65], -v[72:73]
	;; [unrolled: 1-line block ×3, first 2 shown]
	v_add_f64 v[10:11], v[42:43], v[113:114]
	v_add_f64 v[42:43], v[42:43], -v[113:114]
	v_fma_f64 v[105:106], v[109:110], s[4:5], v[107:108]
	v_fma_f64 v[107:108], v[109:110], s[6:7], v[107:108]
	;; [unrolled: 1-line block ×3, first 2 shown]
	v_add_f64 v[115:116], v[72:73], -v[64:65]
	v_add_f64 v[117:118], v[74:75], -v[78:79]
	v_fma_f64 v[0:1], v[111:112], s[4:5], v[0:1]
	v_add_f64 v[93:94], v[93:94], v[103:104]
	v_add_f64 v[103:104], v[2:3], v[60:61]
	;; [unrolled: 1-line block ×3, first 2 shown]
	v_fma_f64 v[105:106], v[111:112], s[8:9], v[105:106]
	v_fma_f64 v[107:108], v[111:112], s[14:15], v[107:108]
	;; [unrolled: 1-line block ×3, first 2 shown]
	v_add_f64 v[113:114], v[115:116], v[117:118]
	v_fma_f64 v[0:1], v[109:110], s[14:15], v[0:1]
	v_add_f64 v[109:110], v[60:61], v[76:77]
	v_add_f64 v[103:104], v[103:104], v[68:69]
	v_fma_f64 v[115:116], v[119:120], -0.5, v[2:3]
	v_add_f64 v[64:65], v[64:65], -v[78:79]
	v_add_f64 v[91:92], v[91:92], v[78:79]
	v_fma_f64 v[78:79], v[93:94], s[16:17], v[105:106]
	v_fma_f64 v[93:94], v[93:94], s[16:17], v[107:108]
	;; [unrolled: 1-line block ×3, first 2 shown]
	v_add_f64 v[72:73], v[72:73], -v[74:75]
	v_fma_f64 v[2:3], v[109:110], -0.5, v[2:3]
	v_fma_f64 v[74:75], v[113:114], s[16:17], v[0:1]
	v_add_f64 v[0:1], v[103:104], v[70:71]
	v_fma_f64 v[103:104], v[64:65], s[6:7], v[115:116]
	v_add_f64 v[107:108], v[46:47], v[52:53]
	v_add_f64 v[109:110], v[60:61], -v[68:69]
	v_add_f64 v[111:112], v[76:77], -v[70:71]
	v_fma_f64 v[113:114], v[64:65], s[4:5], v[115:116]
	v_fma_f64 v[115:116], v[72:73], s[4:5], v[2:3]
	v_add_f64 v[60:61], v[68:69], -v[60:61]
	v_add_f64 v[68:69], v[70:71], -v[76:77]
	v_fma_f64 v[2:3], v[72:73], s[6:7], v[2:3]
	v_add_f64 v[70:71], v[107:108], v[54:55]
	v_add_f64 v[107:108], v[54:55], v[62:63]
	v_fma_f64 v[103:104], v[72:73], s[14:15], v[103:104]
	v_add_f64 v[109:110], v[109:110], v[111:112]
	v_fma_f64 v[72:73], v[72:73], s[8:9], v[113:114]
	v_fma_f64 v[111:112], v[64:65], s[14:15], v[115:116]
	v_add_f64 v[60:61], v[60:61], v[68:69]
	v_fma_f64 v[2:3], v[64:65], s[8:9], v[2:3]
	v_add_f64 v[64:65], v[70:71], v[62:63]
	v_fma_f64 v[68:69], v[107:108], -0.5, v[46:47]
	v_add_f64 v[107:108], v[0:1], v[76:77]
	v_fma_f64 v[103:104], v[109:110], s[16:17], v[103:104]
	v_fma_f64 v[109:110], v[109:110], s[16:17], v[72:73]
	v_add_f64 v[0:1], v[52:53], v[66:67]
	v_add_f64 v[72:73], v[50:51], v[56:57]
	v_add_f64 v[70:71], v[48:49], -v[58:59]
	v_add_f64 v[76:77], v[52:53], -v[54:55]
	;; [unrolled: 1-line block ×3, first 2 shown]
	v_add_f64 v[117:118], v[48:49], v[58:59]
	v_add_f64 v[119:120], v[62:63], -v[66:67]
	v_fma_f64 v[111:112], v[60:61], s[16:17], v[111:112]
	v_fma_f64 v[0:1], v[0:1], -0.5, v[46:47]
	v_add_f64 v[46:47], v[54:55], -v[52:53]
	v_fma_f64 v[72:73], v[72:73], -0.5, v[44:45]
	v_add_f64 v[52:53], v[52:53], -v[66:67]
	v_fma_f64 v[113:114], v[60:61], s[16:17], v[2:3]
	v_add_f64 v[60:61], v[64:65], v[66:67]
	v_fma_f64 v[2:3], v[70:71], s[4:5], v[68:69]
	v_add_f64 v[64:65], v[50:51], -v[56:57]
	v_fma_f64 v[68:69], v[70:71], s[6:7], v[68:69]
	v_add_f64 v[66:67], v[76:77], v[115:116]
	v_add_f64 v[54:55], v[54:55], -v[62:63]
	v_fma_f64 v[62:63], v[117:118], -0.5, v[44:45]
	v_add_f64 v[46:47], v[46:47], v[119:120]
	v_fma_f64 v[115:116], v[52:53], s[6:7], v[72:73]
	v_add_f64 v[117:118], v[48:49], -v[50:51]
	v_add_f64 v[119:120], v[58:59], -v[56:57]
	v_add_f64 v[44:45], v[44:45], v[48:49]
	v_fma_f64 v[2:3], v[64:65], s[8:9], v[2:3]
	v_fma_f64 v[68:69], v[64:65], s[14:15], v[68:69]
	;; [unrolled: 1-line block ×5, first 2 shown]
	v_add_f64 v[48:49], v[50:51], -v[48:49]
	v_add_f64 v[121:122], v[56:57], -v[58:59]
	v_fma_f64 v[115:116], v[54:55], s[14:15], v[115:116]
	v_add_f64 v[117:118], v[117:118], v[119:120]
	v_fma_f64 v[62:63], v[54:55], s[6:7], v[62:63]
	v_add_f64 v[44:45], v[44:45], v[50:51]
	v_fma_f64 v[50:51], v[52:53], s[4:5], v[72:73]
	v_fma_f64 v[64:65], v[52:53], s[14:15], v[64:65]
	v_fma_f64 v[0:1], v[70:71], s[14:15], v[0:1]
	v_add_f64 v[48:49], v[48:49], v[121:122]
	v_fma_f64 v[70:71], v[70:71], s[8:9], v[76:77]
	v_fma_f64 v[72:73], v[117:118], s[16:17], v[115:116]
	;; [unrolled: 4-line block ×3, first 2 shown]
	v_fma_f64 v[62:63], v[46:47], s[16:17], v[0:1]
	v_fma_f64 v[56:57], v[48:49], s[16:17], v[64:65]
	;; [unrolled: 1-line block ×3, first 2 shown]
	v_mul_f64 v[64:65], v[72:73], s[8:9]
	v_fma_f64 v[48:49], v[48:49], s[16:17], v[52:53]
	v_fma_f64 v[54:55], v[66:67], s[16:17], v[68:69]
	v_add_f64 v[115:116], v[44:45], v[58:59]
	v_fma_f64 v[44:45], v[117:118], s[16:17], v[50:51]
	v_mul_f64 v[52:53], v[62:63], s[16:17]
	v_mul_f64 v[50:51], v[56:57], s[4:5]
	v_add_f64 v[0:1], v[91:92], v[60:61]
	v_fma_f64 v[117:118], v[2:3], s[18:19], v[64:65]
	v_mul_f64 v[2:3], v[2:3], s[14:15]
	v_mul_f64 v[64:65], v[46:47], s[6:7]
	;; [unrolled: 1-line block ×5, first 2 shown]
	v_fma_f64 v[46:47], v[46:47], s[16:17], v[50:51]
	v_fma_f64 v[52:53], v[48:49], s[4:5], -v[52:53]
	v_add_f64 v[68:69], v[78:79], v[117:118]
	v_fma_f64 v[119:120], v[72:73], s[18:19], v[2:3]
	v_fma_f64 v[121:122], v[56:57], s[16:17], v[64:65]
	v_fma_f64 v[123:124], v[62:63], s[6:7], -v[66:67]
	v_fma_f64 v[44:45], v[44:45], s[8:9], -v[58:59]
	;; [unrolled: 1-line block ×3, first 2 shown]
	v_add_f64 v[2:3], v[107:108], v[115:116]
	v_add_f64 v[64:65], v[105:106], v[46:47]
	;; [unrolled: 1-line block ×6, first 2 shown]
	v_add_f64 v[76:77], v[91:92], -v[60:61]
	v_mov_b32_e32 v92, 4
	v_add_f64 v[48:49], v[93:94], v[44:45]
	v_add_f64 v[50:51], v[109:110], v[125:126]
	v_mul_u32_u24_e32 v91, 0x640, v102
	v_lshlrev_b32_sdwa v92, v92, v99 dst_sel:DWORD dst_unused:UNUSED_PAD src0_sel:DWORD src1_sel:BYTE_0
	v_add_f64 v[72:73], v[78:79], -v[117:118]
	v_add_f64 v[78:79], v[107:108], -v[115:116]
	v_add3_u32 v91, 0, v91, v92
	v_add_f64 v[52:53], v[74:75], -v[52:53]
	v_add_f64 v[74:75], v[103:104], -v[119:120]
	s_barrier
	ds_write_b128 v91, v[4:7]
	ds_write_b128 v91, v[20:23] offset:160
	ds_write_b128 v91, v[16:19] offset:320
	ds_write_b128 v91, v[12:15] offset:480
	ds_write_b128 v91, v[8:11] offset:640
	ds_write_b128 v91, v[36:39] offset:800
	ds_write_b128 v91, v[28:31] offset:960
	ds_write_b128 v91, v[24:27] offset:1120
	ds_write_b128 v91, v[32:35] offset:1280
	ds_write_b128 v91, v[40:43] offset:1440
	v_mul_u32_u24_e32 v4, 0x640, v100
	v_lshlrev_b32_e32 v5, 4, v101
	v_add_f64 v[60:61], v[105:106], -v[46:47]
	v_add_f64 v[62:63], v[111:112], -v[121:122]
	v_add3_u32 v4, 0, v4, v5
	v_add_f64 v[44:45], v[93:94], -v[44:45]
	v_add_f64 v[54:55], v[113:114], -v[123:124]
	v_add_f64 v[46:47], v[109:110], -v[125:126]
	ds_write_b128 v4, v[0:3]
	ds_write_b128 v4, v[68:71] offset:160
	ds_write_b128 v4, v[64:67] offset:320
	ds_write_b128 v4, v[56:59] offset:480
	ds_write_b128 v4, v[48:51] offset:640
	ds_write_b128 v4, v[76:79] offset:800
	ds_write_b128 v4, v[72:75] offset:960
	ds_write_b128 v4, v[60:63] offset:1120
	ds_write_b128 v4, v[52:55] offset:1280
	ds_write_b128 v4, v[44:47] offset:1440
	v_add_u32_e32 v0, 0xffffff9c, v80
	v_cndmask_b32_e32 v100, v0, v80, vcc
	v_mul_i32_i24_e32 v91, 9, v100
	v_mov_b32_e32 v92, 0
	v_lshlrev_b64 v[0:1], 4, v[91:92]
	v_mov_b32_e32 v99, s13
	v_add_co_u32_e32 v0, vcc, s12, v0
	v_addc_co_u32_e32 v1, vcc, v99, v1, vcc
	s_waitcnt lgkmcnt(0)
	s_barrier
	global_load_dwordx4 v[4:7], v[0:1], off offset:1440
	global_load_dwordx4 v[8:11], v[0:1], off offset:1456
	global_load_dwordx4 v[12:15], v[0:1], off offset:1472
	global_load_dwordx4 v[18:21], v[0:1], off offset:1488
	global_load_dwordx4 v[22:25], v[0:1], off offset:1504
	global_load_dwordx4 v[26:29], v[0:1], off offset:1520
	global_load_dwordx4 v[30:33], v[0:1], off offset:1536
	global_load_dwordx4 v[34:37], v[0:1], off offset:1552
	global_load_dwordx4 v[38:41], v[0:1], off offset:1568
	v_lshrrev_b16_e32 v2, 2, v86
	v_mul_u32_u24_e32 v0, 0x147b, v2
	v_lshrrev_b32_e32 v91, 17, v0
	v_mul_lo_u16_e32 v0, 0x64, v91
	v_sub_u16_e32 v101, v86, v0
	v_mul_u32_u24_e32 v0, 9, v101
	v_lshlrev_b32_e32 v142, 4, v0
	global_load_dwordx4 v[42:45], v142, s[12:13] offset:1440
	global_load_dwordx4 v[46:49], v142, s[12:13] offset:1456
	;; [unrolled: 1-line block ×3, first 2 shown]
	ds_read_b128 v[56:59], v98
	ds_read_b128 v[60:63], v97 offset:32000
	ds_read_b128 v[64:67], v96
	ds_read_b128 v[0:3], v87
	ds_read_b128 v[68:71], v97 offset:19200
	ds_read_b128 v[72:75], v97 offset:22400
	;; [unrolled: 1-line block ×6, first 2 shown]
	s_waitcnt vmcnt(11) lgkmcnt(9)
	v_mul_f64 v[16:17], v[58:59], v[6:7]
	v_mul_f64 v[6:7], v[56:57], v[6:7]
	s_waitcnt vmcnt(10) lgkmcnt(7)
	v_mul_f64 v[50:51], v[66:67], v[10:11]
	v_mul_f64 v[10:11], v[64:65], v[10:11]
	v_fma_f64 v[126:127], v[56:57], v[4:5], -v[16:17]
	v_fma_f64 v[4:5], v[58:59], v[4:5], v[6:7]
	s_waitcnt vmcnt(9) lgkmcnt(5)
	v_mul_f64 v[6:7], v[70:71], v[14:15]
	v_mul_f64 v[14:15], v[68:69], v[14:15]
	v_fma_f64 v[128:129], v[66:67], v[8:9], v[10:11]
	s_waitcnt vmcnt(8) lgkmcnt(3)
	v_mul_f64 v[10:11], v[78:79], v[20:21]
	v_mul_f64 v[20:21], v[76:77], v[20:21]
	ds_read_b128 v[56:59], v97 offset:44800
	ds_read_b128 v[114:117], v97 offset:41600
	v_fma_f64 v[93:94], v[64:65], v[8:9], -v[50:51]
	v_fma_f64 v[16:17], v[68:69], v[12:13], -v[6:7]
	s_waitcnt vmcnt(7)
	v_mul_f64 v[6:7], v[62:63], v[24:25]
	v_mul_f64 v[24:25], v[60:61], v[24:25]
	v_fma_f64 v[8:9], v[70:71], v[12:13], v[14:15]
	ds_read_b128 v[12:15], v97 offset:51200
	ds_read_b128 v[118:121], v97 offset:48000
	v_fma_f64 v[130:131], v[76:77], v[18:19], -v[10:11]
	v_fma_f64 v[132:133], v[78:79], v[18:19], v[20:21]
	s_waitcnt vmcnt(6) lgkmcnt(5)
	v_mul_f64 v[10:11], v[108:109], v[28:29]
	v_mul_f64 v[28:29], v[106:107], v[28:29]
	v_fma_f64 v[18:19], v[60:61], v[22:23], -v[6:7]
	v_fma_f64 v[6:7], v[62:63], v[22:23], v[24:25]
	s_waitcnt vmcnt(5) lgkmcnt(3)
	v_mul_f64 v[24:25], v[58:59], v[32:33]
	v_mul_f64 v[32:33], v[56:57], v[32:33]
	s_waitcnt vmcnt(4) lgkmcnt(1)
	v_mul_f64 v[50:51], v[14:15], v[36:37]
	v_mul_f64 v[36:37], v[12:13], v[36:37]
	ds_read_b128 v[20:23], v97 offset:57600
	ds_read_b128 v[122:125], v97 offset:54400
	v_fma_f64 v[136:137], v[108:109], v[26:27], v[28:29]
	v_fma_f64 v[134:135], v[106:107], v[26:27], -v[10:11]
	v_fma_f64 v[28:29], v[56:57], v[30:31], -v[24:25]
	s_waitcnt vmcnt(3) lgkmcnt(1)
	v_mul_f64 v[56:57], v[22:23], v[40:41]
	v_fma_f64 v[10:11], v[58:59], v[30:31], v[32:33]
	ds_read_b128 v[30:33], v97 offset:9600
	v_fma_f64 v[138:139], v[12:13], v[34:35], -v[50:51]
	v_fma_f64 v[140:141], v[14:15], v[34:35], v[36:37]
	ds_read_b128 v[34:37], v97 offset:16000
	global_load_dwordx4 v[24:27], v142, s[12:13] offset:1488
	v_mul_f64 v[40:41], v[20:21], v[40:41]
	v_fma_f64 v[14:15], v[20:21], v[38:39], -v[56:57]
	s_waitcnt vmcnt(3) lgkmcnt(1)
	v_mul_f64 v[50:51], v[32:33], v[44:45]
	s_waitcnt vmcnt(2) lgkmcnt(0)
	v_mul_f64 v[56:57], v[36:37], v[48:49]
	v_mul_f64 v[44:45], v[30:31], v[44:45]
	;; [unrolled: 1-line block ×3, first 2 shown]
	v_fma_f64 v[12:13], v[22:23], v[38:39], v[40:41]
	global_load_dwordx4 v[20:23], v142, s[12:13] offset:1504
	v_fma_f64 v[50:51], v[30:31], v[42:43], -v[50:51]
	v_fma_f64 v[68:69], v[34:35], v[46:47], -v[56:57]
	s_waitcnt vmcnt(2)
	v_mul_f64 v[34:35], v[74:75], v[54:55]
	v_fma_f64 v[44:45], v[32:33], v[42:43], v[44:45]
	global_load_dwordx4 v[30:33], v142, s[12:13] offset:1520
	global_load_dwordx4 v[38:41], v142, s[12:13] offset:1536
	v_fma_f64 v[60:61], v[36:37], v[46:47], v[48:49]
	global_load_dwordx4 v[106:109], v142, s[12:13] offset:1568
	v_mul_f64 v[42:43], v[72:73], v[54:55]
	v_fma_f64 v[48:49], v[72:73], v[52:53], -v[34:35]
	global_load_dwordx4 v[34:37], v142, s[12:13] offset:1552
	v_fma_f64 v[46:47], v[74:75], v[52:53], v[42:43]
	s_waitcnt vmcnt(5)
	v_mul_f64 v[42:43], v[104:105], v[26:27]
	v_mul_f64 v[26:27], v[102:103], v[26:27]
	v_fma_f64 v[72:73], v[102:103], v[24:25], -v[42:43]
	v_fma_f64 v[66:67], v[104:105], v[24:25], v[26:27]
	s_waitcnt vmcnt(4)
	v_mul_f64 v[24:25], v[112:113], v[22:23]
	v_mul_f64 v[22:23], v[110:111], v[22:23]
	v_add_f64 v[102:103], v[128:129], -v[140:141]
	v_add_f64 v[104:105], v[132:133], v[136:137]
	s_waitcnt vmcnt(3)
	v_mul_f64 v[26:27], v[116:117], v[32:33]
	v_mul_f64 v[32:33], v[114:115], v[32:33]
	s_waitcnt vmcnt(2)
	v_mul_f64 v[42:43], v[120:121], v[40:41]
	v_mul_f64 v[40:41], v[118:119], v[40:41]
	v_fma_f64 v[54:55], v[110:111], v[20:21], -v[24:25]
	v_fma_f64 v[52:53], v[112:113], v[20:21], v[22:23]
	v_fma_f64 v[74:75], v[114:115], v[30:31], -v[26:27]
	v_fma_f64 v[70:71], v[116:117], v[30:31], v[32:33]
	v_add_f64 v[30:31], v[130:131], v[134:135]
	s_waitcnt vmcnt(0)
	v_mul_f64 v[32:33], v[124:125], v[36:37]
	ds_read_b128 v[20:23], v97
	ds_read_b128 v[24:27], v97 offset:60800
	v_fma_f64 v[62:63], v[118:119], v[38:39], -v[42:43]
	v_fma_f64 v[56:57], v[120:121], v[38:39], v[40:41]
	v_mul_f64 v[36:37], v[122:123], v[36:37]
	s_waitcnt lgkmcnt(1)
	v_add_f64 v[42:43], v[20:21], v[93:94]
	s_waitcnt lgkmcnt(0)
	v_mul_f64 v[38:39], v[26:27], v[108:109]
	v_mul_f64 v[40:41], v[24:25], v[108:109]
	v_fma_f64 v[30:31], v[30:31], -0.5, v[20:21]
	v_fma_f64 v[78:79], v[122:123], v[34:35], -v[32:33]
	v_add_f64 v[32:33], v[93:94], v[138:139]
	v_add_f64 v[108:109], v[136:137], -v[140:141]
	v_fma_f64 v[76:77], v[124:125], v[34:35], v[36:37]
	v_add_f64 v[34:35], v[132:133], -v[136:137]
	v_fma_f64 v[64:65], v[24:25], v[106:107], -v[38:39]
	v_fma_f64 v[58:59], v[26:27], v[106:107], v[40:41]
	v_fma_f64 v[26:27], v[102:103], s[4:5], v[30:31]
	v_add_f64 v[36:37], v[93:94], -v[130:131]
	v_add_f64 v[38:39], v[138:139], -v[134:135]
	v_fma_f64 v[20:21], v[32:33], -0.5, v[20:21]
	v_fma_f64 v[30:31], v[102:103], s[6:7], v[30:31]
	v_add_f64 v[24:25], v[42:43], v[130:131]
	v_add_f64 v[40:41], v[134:135], -v[138:139]
	v_add_f64 v[42:43], v[22:23], v[128:129]
	v_fma_f64 v[26:27], v[34:35], s[8:9], v[26:27]
	v_add_f64 v[114:115], v[18:19], -v[16:17]
	v_add_f64 v[32:33], v[36:37], v[38:39]
	v_fma_f64 v[36:37], v[34:35], s[6:7], v[20:21]
	v_add_f64 v[38:39], v[130:131], -v[93:94]
	v_fma_f64 v[30:31], v[34:35], s[14:15], v[30:31]
	v_fma_f64 v[34:35], v[34:35], s[4:5], v[20:21]
	v_add_f64 v[24:25], v[24:25], v[134:135]
	v_add_f64 v[42:43], v[42:43], v[132:133]
	v_add_f64 v[93:94], v[93:94], -v[138:139]
	v_add_f64 v[116:117], v[28:29], -v[14:15]
	v_fma_f64 v[106:107], v[102:103], s[8:9], v[36:37]
	v_add_f64 v[38:39], v[38:39], v[40:41]
	v_add_f64 v[40:41], v[128:129], v[140:141]
	v_fma_f64 v[34:35], v[102:103], s[14:15], v[34:35]
	v_fma_f64 v[102:103], v[104:105], -0.5, v[22:23]
	v_add_f64 v[20:21], v[24:25], v[138:139]
	v_fma_f64 v[24:25], v[32:33], s[16:17], v[26:27]
	v_fma_f64 v[36:37], v[32:33], s[16:17], v[30:31]
	v_add_f64 v[32:33], v[130:131], -v[134:135]
	v_fma_f64 v[26:27], v[38:39], s[16:17], v[106:107]
	v_fma_f64 v[30:31], v[40:41], -0.5, v[22:23]
	v_fma_f64 v[22:23], v[38:39], s[16:17], v[34:35]
	v_add_f64 v[34:35], v[42:43], v[136:137]
	v_fma_f64 v[38:39], v[93:94], s[6:7], v[102:103]
	v_add_f64 v[40:41], v[128:129], -v[132:133]
	v_add_f64 v[42:43], v[140:141], -v[136:137]
	v_fma_f64 v[102:103], v[93:94], s[4:5], v[102:103]
	v_add_f64 v[106:107], v[132:133], -v[128:129]
	v_fma_f64 v[104:105], v[32:33], s[4:5], v[30:31]
	v_fma_f64 v[110:111], v[32:33], s[6:7], v[30:31]
	v_add_f64 v[30:31], v[34:35], v[140:141]
	v_fma_f64 v[34:35], v[32:33], s[14:15], v[38:39]
	v_add_f64 v[120:121], v[6:7], v[10:11]
	v_add_f64 v[38:39], v[40:41], v[42:43]
	v_fma_f64 v[32:33], v[32:33], s[8:9], v[102:103]
	v_add_f64 v[102:103], v[16:17], v[14:15]
	v_fma_f64 v[42:43], v[93:94], s[14:15], v[104:105]
	;; [unrolled: 2-line block ×3, first 2 shown]
	v_add_f64 v[106:107], v[126:127], v[16:17]
	v_add_f64 v[108:109], v[18:19], v[28:29]
	v_fma_f64 v[40:41], v[38:39], s[16:17], v[34:35]
	v_fma_f64 v[38:39], v[38:39], s[16:17], v[32:33]
	v_add_f64 v[32:33], v[6:7], -v[10:11]
	v_fma_f64 v[34:35], v[102:103], -0.5, v[126:127]
	v_fma_f64 v[42:43], v[104:105], s[16:17], v[42:43]
	v_fma_f64 v[93:94], v[104:105], s[16:17], v[93:94]
	v_add_f64 v[102:103], v[106:107], v[18:19]
	v_fma_f64 v[104:105], v[108:109], -0.5, v[126:127]
	v_add_f64 v[106:107], v[8:9], -v[12:13]
	v_add_f64 v[108:109], v[16:17], -v[18:19]
	;; [unrolled: 1-line block ×3, first 2 shown]
	v_fma_f64 v[112:113], v[32:33], s[6:7], v[34:35]
	v_fma_f64 v[34:35], v[32:33], s[4:5], v[34:35]
	v_add_f64 v[16:17], v[16:17], -v[14:15]
	v_add_f64 v[102:103], v[102:103], v[28:29]
	v_add_f64 v[18:19], v[18:19], -v[28:29]
	v_add_f64 v[28:29], v[8:9], -v[6:7]
	v_fma_f64 v[118:119], v[106:107], s[4:5], v[104:105]
	v_add_f64 v[108:109], v[108:109], v[110:111]
	v_fma_f64 v[110:111], v[106:107], s[8:9], v[112:113]
	v_add_f64 v[112:113], v[114:115], v[116:117]
	v_add_f64 v[114:115], v[8:9], v[12:13]
	v_fma_f64 v[116:117], v[120:121], -0.5, v[4:5]
	v_add_f64 v[120:121], v[12:13], -v[10:11]
	v_fma_f64 v[104:105], v[106:107], s[6:7], v[104:105]
	v_fma_f64 v[34:35], v[106:107], s[14:15], v[34:35]
	v_add_f64 v[106:107], v[4:5], v[8:9]
	v_add_f64 v[8:9], v[6:7], -v[8:9]
	v_fma_f64 v[118:119], v[32:33], s[8:9], v[118:119]
	v_fma_f64 v[4:5], v[114:115], -0.5, v[4:5]
	v_add_f64 v[114:115], v[10:11], -v[12:13]
	v_add_f64 v[28:29], v[28:29], v[120:121]
	v_fma_f64 v[120:121], v[16:17], s[6:7], v[116:117]
	v_fma_f64 v[34:35], v[112:113], s[16:17], v[34:35]
	v_add_f64 v[6:7], v[106:107], v[6:7]
	v_fma_f64 v[106:107], v[16:17], s[4:5], v[116:117]
	v_fma_f64 v[118:119], v[108:109], s[16:17], v[118:119]
	v_add_f64 v[102:103], v[102:103], v[14:15]
	v_add_f64 v[8:9], v[8:9], v[114:115]
	v_fma_f64 v[114:115], v[18:19], s[4:5], v[4:5]
	v_fma_f64 v[120:121], v[18:19], s[14:15], v[120:121]
	v_fma_f64 v[4:5], v[18:19], s[6:7], v[4:5]
	v_add_f64 v[6:7], v[6:7], v[10:11]
	v_fma_f64 v[10:11], v[18:19], s[8:9], v[106:107]
	v_add_f64 v[122:123], v[72:73], v[74:75]
	s_barrier
	v_fma_f64 v[114:115], v[16:17], s[14:15], v[114:115]
	v_fma_f64 v[116:117], v[28:29], s[16:17], v[120:121]
	;; [unrolled: 1-line block ×5, first 2 shown]
	v_mul_f64 v[104:105], v[34:35], s[16:17]
	v_add_f64 v[120:121], v[0:1], v[68:69]
	v_fma_f64 v[114:115], v[8:9], s[16:17], v[114:115]
	v_mul_f64 v[18:19], v[116:117], s[8:9]
	v_fma_f64 v[4:5], v[8:9], s[16:17], v[4:5]
	v_fma_f64 v[106:107], v[108:109], s[16:17], v[16:17]
	v_add_f64 v[108:109], v[6:7], v[12:13]
	v_fma_f64 v[6:7], v[28:29], s[16:17], v[10:11]
	v_mul_f64 v[10:11], v[118:119], s[14:15]
	v_mul_f64 v[14:15], v[32:33], s[6:7]
	;; [unrolled: 1-line block ×3, first 2 shown]
	v_fma_f64 v[28:29], v[118:119], s[18:19], v[18:19]
	v_mul_f64 v[18:19], v[4:5], s[16:17]
	v_fma_f64 v[104:105], v[4:5], s[4:5], -v[104:105]
	v_add_f64 v[16:17], v[20:21], v[102:103]
	v_fma_f64 v[112:113], v[116:117], s[18:19], v[10:11]
	v_fma_f64 v[114:115], v[114:115], s[16:17], v[14:15]
	;; [unrolled: 1-line block ×3, first 2 shown]
	v_mul_f64 v[32:33], v[106:107], s[18:19]
	v_fma_f64 v[116:117], v[34:35], s[6:7], -v[18:19]
	v_add_f64 v[12:13], v[24:25], v[28:29]
	v_add_f64 v[4:5], v[22:23], v[104:105]
	v_mul_f64 v[34:35], v[6:7], s[18:19]
	v_add_f64 v[28:29], v[24:25], -v[28:29]
	v_add_f64 v[18:19], v[30:31], v[108:109]
	v_add_f64 v[8:9], v[26:27], v[110:111]
	v_fma_f64 v[118:119], v[6:7], s[8:9], -v[32:33]
	v_add_f64 v[6:7], v[93:94], v[116:117]
	v_add_f64 v[32:33], v[20:21], -v[102:103]
	v_add_f64 v[24:25], v[26:27], -v[110:111]
	v_add_f64 v[102:103], v[120:121], v[72:73]
	v_fma_f64 v[110:111], v[122:123], -0.5, v[0:1]
	v_add_f64 v[120:121], v[60:61], -v[76:77]
	v_add_f64 v[20:21], v[22:23], -v[104:105]
	;; [unrolled: 1-line block ×3, first 2 shown]
	v_add_f64 v[93:94], v[68:69], v[78:79]
	v_add_f64 v[14:15], v[40:41], v[112:113]
	;; [unrolled: 1-line block ×3, first 2 shown]
	v_fma_f64 v[106:107], v[106:107], s[14:15], -v[34:35]
	v_add_f64 v[34:35], v[30:31], -v[108:109]
	v_add_f64 v[30:31], v[40:41], -v[112:113]
	;; [unrolled: 1-line block ×3, first 2 shown]
	v_add_f64 v[102:103], v[102:103], v[74:75]
	v_fma_f64 v[104:105], v[120:121], s[4:5], v[110:111]
	v_add_f64 v[108:109], v[66:67], -v[70:71]
	v_add_f64 v[112:113], v[68:69], -v[72:73]
	v_add_f64 v[114:115], v[78:79], -v[74:75]
	v_fma_f64 v[0:1], v[93:94], -0.5, v[0:1]
	v_add_f64 v[42:43], v[38:39], v[106:107]
	v_add_f64 v[38:39], v[38:39], -v[106:107]
	v_add_f64 v[93:94], v[102:103], v[78:79]
	v_add_f64 v[106:107], v[66:67], v[70:71]
	v_fma_f64 v[102:103], v[108:109], s[8:9], v[104:105]
	v_fma_f64 v[110:111], v[120:121], s[6:7], v[110:111]
	v_add_f64 v[104:105], v[112:113], v[114:115]
	v_fma_f64 v[112:113], v[108:109], s[6:7], v[0:1]
	v_add_f64 v[114:115], v[72:73], -v[68:69]
	v_add_f64 v[116:117], v[74:75], -v[78:79]
	v_fma_f64 v[0:1], v[108:109], s[4:5], v[0:1]
	v_add_f64 v[68:69], v[68:69], -v[78:79]
	v_add_f64 v[78:79], v[2:3], v[60:61]
	v_fma_f64 v[106:107], v[106:107], -0.5, v[2:3]
	v_fma_f64 v[108:109], v[108:109], s[14:15], v[110:111]
	v_fma_f64 v[110:111], v[120:121], s[8:9], v[112:113]
	;; [unrolled: 1-line block ×3, first 2 shown]
	v_add_f64 v[112:113], v[114:115], v[116:117]
	v_add_f64 v[114:115], v[60:61], v[76:77]
	v_fma_f64 v[0:1], v[120:121], s[14:15], v[0:1]
	v_add_f64 v[78:79], v[78:79], v[66:67]
	v_fma_f64 v[116:117], v[68:69], s[6:7], v[106:107]
	v_add_f64 v[72:73], v[72:73], -v[74:75]
	v_fma_f64 v[74:75], v[104:105], s[16:17], v[108:109]
	v_add_f64 v[104:105], v[60:61], -v[66:67]
	v_add_f64 v[108:109], v[76:77], -v[70:71]
	v_fma_f64 v[2:3], v[114:115], -0.5, v[2:3]
	v_fma_f64 v[110:111], v[112:113], s[16:17], v[110:111]
	v_fma_f64 v[112:113], v[112:113], s[16:17], v[0:1]
	v_add_f64 v[0:1], v[78:79], v[70:71]
	v_fma_f64 v[78:79], v[72:73], s[14:15], v[116:117]
	v_add_f64 v[114:115], v[50:51], v[48:49]
	v_add_f64 v[116:117], v[54:55], v[62:63]
	;; [unrolled: 1-line block ×3, first 2 shown]
	v_fma_f64 v[106:107], v[68:69], s[4:5], v[106:107]
	v_fma_f64 v[108:109], v[72:73], s[4:5], v[2:3]
	v_add_f64 v[60:61], v[66:67], -v[60:61]
	v_add_f64 v[66:67], v[70:71], -v[76:77]
	v_fma_f64 v[2:3], v[72:73], s[6:7], v[2:3]
	v_add_f64 v[40:41], v[36:37], v[118:119]
	v_add_f64 v[36:37], v[36:37], -v[118:119]
	v_add_f64 v[70:71], v[114:115], v[54:55]
	v_fma_f64 v[114:115], v[116:117], -0.5, v[50:51]
	v_add_f64 v[116:117], v[46:47], -v[58:59]
	v_add_f64 v[118:119], v[0:1], v[76:77]
	v_fma_f64 v[0:1], v[72:73], s[8:9], v[106:107]
	v_add_f64 v[60:61], v[60:61], v[66:67]
	v_fma_f64 v[2:3], v[68:69], s[8:9], v[2:3]
	v_fma_f64 v[120:121], v[104:105], s[16:17], v[78:79]
	;; [unrolled: 1-line block ×3, first 2 shown]
	v_add_f64 v[66:67], v[70:71], v[62:63]
	v_fma_f64 v[68:69], v[116:117], s[4:5], v[114:115]
	v_add_f64 v[70:71], v[52:53], -v[56:57]
	v_add_f64 v[76:77], v[48:49], -v[54:55]
	;; [unrolled: 1-line block ×3, first 2 shown]
	v_fma_f64 v[104:105], v[104:105], s[16:17], v[0:1]
	v_add_f64 v[0:1], v[48:49], v[64:65]
	v_fma_f64 v[108:109], v[60:61], s[16:17], v[2:3]
	v_add_f64 v[2:3], v[52:53], v[56:57]
	;; [unrolled: 2-line block ×4, first 2 shown]
	v_fma_f64 v[72:73], v[116:117], s[6:7], v[114:115]
	v_fma_f64 v[0:1], v[0:1], -0.5, v[50:51]
	v_add_f64 v[50:51], v[46:47], v[58:59]
	v_add_f64 v[76:77], v[54:55], -v[48:49]
	v_fma_f64 v[2:3], v[2:3], -0.5, v[44:45]
	v_add_f64 v[48:49], v[48:49], -v[64:65]
	v_add_f64 v[78:79], v[62:63], -v[64:65]
	;; [unrolled: 1-line block ×5, first 2 shown]
	v_fma_f64 v[50:51], v[50:51], -0.5, v[44:45]
	v_fma_f64 v[72:73], v[70:71], s[14:15], v[72:73]
	v_fma_f64 v[114:115], v[70:71], s[6:7], v[0:1]
	;; [unrolled: 1-line block ×4, first 2 shown]
	v_add_f64 v[44:45], v[44:45], v[46:47]
	v_add_f64 v[76:77], v[76:77], v[78:79]
	;; [unrolled: 1-line block ×3, first 2 shown]
	v_fma_f64 v[64:65], v[54:55], s[4:5], v[50:51]
	v_add_f64 v[46:47], v[52:53], -v[46:47]
	v_add_f64 v[78:79], v[56:57], -v[58:59]
	v_fma_f64 v[50:51], v[54:55], s[6:7], v[50:51]
	v_fma_f64 v[70:71], v[54:55], s[14:15], v[70:71]
	v_add_f64 v[44:45], v[44:45], v[52:53]
	v_fma_f64 v[2:3], v[48:49], s[4:5], v[2:3]
	v_fma_f64 v[0:1], v[116:117], s[14:15], v[0:1]
	;; [unrolled: 1-line block ×4, first 2 shown]
	v_add_f64 v[46:47], v[46:47], v[78:79]
	v_fma_f64 v[48:49], v[48:49], s[8:9], v[50:51]
	v_fma_f64 v[70:71], v[62:63], s[16:17], v[70:71]
	v_add_f64 v[44:45], v[44:45], v[56:57]
	v_fma_f64 v[2:3], v[54:55], s[8:9], v[2:3]
	v_fma_f64 v[66:67], v[68:69], s[16:17], v[66:67]
	;; [unrolled: 1-line block ×6, first 2 shown]
	v_mul_f64 v[64:65], v[70:71], s[8:9]
	v_add_f64 v[78:79], v[44:45], v[58:59]
	v_fma_f64 v[44:45], v[46:47], s[16:17], v[48:49]
	v_fma_f64 v[2:3], v[62:63], s[16:17], v[2:3]
	v_mul_f64 v[48:49], v[54:55], s[16:17]
	v_add_f64 v[0:1], v[93:94], v[60:61]
	v_mul_f64 v[46:47], v[52:53], s[4:5]
	v_mul_f64 v[58:59], v[50:51], s[18:19]
	v_fma_f64 v[62:63], v[66:67], s[18:19], v[64:65]
	v_mul_f64 v[64:65], v[66:67], s[14:15]
	v_mul_f64 v[66:67], v[56:57], s[6:7]
	;; [unrolled: 1-line block ×4, first 2 shown]
	v_fma_f64 v[44:45], v[44:45], s[4:5], -v[48:49]
	v_fma_f64 v[46:47], v[56:57], s[16:17], v[46:47]
	v_fma_f64 v[114:115], v[2:3], s[8:9], -v[58:59]
	v_add_f64 v[2:3], v[118:119], v[78:79]
	v_fma_f64 v[116:117], v[70:71], s[18:19], v[64:65]
	v_fma_f64 v[122:123], v[52:53], s[16:17], v[66:67]
	v_fma_f64 v[54:55], v[54:55], s[6:7], -v[72:73]
	v_fma_f64 v[124:125], v[50:51], s[14:15], -v[76:77]
	v_add_f64 v[68:69], v[102:103], v[62:63]
	v_add_f64 v[64:65], v[110:111], v[46:47]
	s_movk_i32 s4, 0x63
	v_add_f64 v[56:57], v[112:113], v[44:45]
	v_add_f64 v[70:71], v[120:121], v[116:117]
	;; [unrolled: 1-line block ×4, first 2 shown]
	v_add_f64 v[76:77], v[93:94], -v[60:61]
	v_mov_b32_e32 v93, 0x3e80
	v_cmp_lt_u32_e32 vcc, s4, v80
	v_add_f64 v[48:49], v[74:75], v[114:115]
	v_add_f64 v[50:51], v[104:105], v[124:125]
	v_cndmask_b32_e32 v93, 0, v93, vcc
	v_lshlrev_b32_e32 v94, 4, v100
	v_add_f64 v[78:79], v[118:119], -v[78:79]
	v_add3_u32 v93, 0, v93, v94
	v_add_f64 v[72:73], v[102:103], -v[62:63]
	v_add_f64 v[52:53], v[112:113], -v[44:45]
	;; [unrolled: 1-line block ×4, first 2 shown]
	ds_write_b128 v93, v[16:19]
	ds_write_b128 v93, v[12:15] offset:1600
	ds_write_b128 v93, v[8:11] offset:3200
	;; [unrolled: 1-line block ×9, first 2 shown]
	v_mul_u32_u24_e32 v4, 0x3e80, v91
	v_lshlrev_b32_e32 v5, 4, v101
	v_add_f64 v[60:61], v[110:111], -v[46:47]
	v_add_f64 v[62:63], v[106:107], -v[122:123]
	v_add3_u32 v4, 0, v4, v5
	v_add_f64 v[54:55], v[108:109], -v[54:55]
	v_add_f64 v[46:47], v[104:105], -v[124:125]
	ds_write_b128 v4, v[0:3]
	ds_write_b128 v4, v[68:71] offset:1600
	ds_write_b128 v4, v[64:67] offset:3200
	;; [unrolled: 1-line block ×9, first 2 shown]
	v_mul_u32_u24_e32 v0, 3, v80
	v_lshlrev_b32_e32 v0, 4, v0
	v_add_co_u32_e32 v0, vcc, s12, v0
	v_addc_co_u32_e32 v1, vcc, 0, v99, vcc
	s_movk_i32 s4, 0x3de0
	v_add_co_u32_e32 v12, vcc, s4, v0
	v_addc_co_u32_e32 v13, vcc, 0, v1, vcc
	s_movk_i32 s5, 0x3000
	v_add_co_u32_e32 v14, vcc, s5, v0
	v_addc_co_u32_e32 v15, vcc, 0, v1, vcc
	s_waitcnt lgkmcnt(0)
	s_barrier
	global_load_dwordx4 v[0:3], v[14:15], off offset:3552
	global_load_dwordx4 v[4:7], v[12:13], off offset:32
	;; [unrolled: 1-line block ×3, first 2 shown]
	v_mul_i32_i24_e32 v91, 3, v86
	v_lshlrev_b64 v[12:13], 4, v[91:92]
	v_mul_i32_i24_e32 v91, 3, v90
	v_add_co_u32_e32 v12, vcc, s12, v12
	v_addc_co_u32_e32 v13, vcc, v99, v13, vcc
	v_add_co_u32_e32 v25, vcc, s4, v12
	v_addc_co_u32_e32 v26, vcc, 0, v13, vcc
	;; [unrolled: 2-line block ×3, first 2 shown]
	global_load_dwordx4 v[13:16], v[27:28], off offset:3552
	global_load_dwordx4 v[17:20], v[25:26], off offset:32
	;; [unrolled: 1-line block ×3, first 2 shown]
	v_lshlrev_b64 v[25:26], 4, v[91:92]
	v_mul_i32_i24_e32 v91, 3, v89
	v_add_co_u32_e32 v12, vcc, s12, v25
	v_addc_co_u32_e32 v29, vcc, v99, v26, vcc
	v_add_co_u32_e32 v25, vcc, s5, v12
	v_addc_co_u32_e32 v26, vcc, 0, v29, vcc
	global_load_dwordx4 v[25:28], v[25:26], off offset:3552
	v_add_co_u32_e32 v37, vcc, s4, v12
	v_addc_co_u32_e32 v38, vcc, 0, v29, vcc
	global_load_dwordx4 v[29:32], v[37:38], off offset:32
	global_load_dwordx4 v[33:36], v[37:38], off offset:16
	v_lshlrev_b64 v[37:38], 4, v[91:92]
	v_mul_i32_i24_e32 v91, 3, v88
	v_add_co_u32_e32 v12, vcc, s12, v37
	v_addc_co_u32_e32 v41, vcc, v99, v38, vcc
	v_add_co_u32_e32 v37, vcc, s5, v12
	v_addc_co_u32_e32 v38, vcc, 0, v41, vcc
	global_load_dwordx4 v[37:40], v[37:38], off offset:3552
	v_add_co_u32_e32 v49, vcc, s4, v12
	v_addc_co_u32_e32 v50, vcc, 0, v41, vcc
	global_load_dwordx4 v[41:44], v[49:50], off offset:16
	global_load_dwordx4 v[45:48], v[49:50], off offset:32
	v_lshlrev_b64 v[49:50], 4, v[91:92]
	s_add_u32 s6, s12, 0xf960
	v_add_co_u32_e32 v12, vcc, s12, v49
	v_addc_co_u32_e32 v53, vcc, v99, v50, vcc
	v_add_co_u32_e32 v49, vcc, s5, v12
	v_addc_co_u32_e32 v50, vcc, 0, v53, vcc
	;; [unrolled: 2-line block ×3, first 2 shown]
	global_load_dwordx4 v[49:52], v[49:50], off offset:3552
	s_nop 0
	global_load_dwordx4 v[53:56], v[61:62], off offset:16
	global_load_dwordx4 v[57:60], v[61:62], off offset:32
	ds_read_b128 v[61:64], v97 offset:16000
	ds_read_b128 v[65:68], v97 offset:32000
	;; [unrolled: 1-line block ×8, first 2 shown]
	v_lshl_add_u32 v12, v89, 4, 0
	s_addc_u32 s7, s13, 0
	v_cmp_ne_u32_e32 vcc, 0, v80
	s_waitcnt vmcnt(14) lgkmcnt(7)
	v_mul_f64 v[77:78], v[63:64], v[2:3]
	v_mul_f64 v[2:3], v[61:62], v[2:3]
	s_waitcnt vmcnt(12) lgkmcnt(6)
	v_mul_f64 v[93:94], v[67:68], v[10:11]
	v_mul_f64 v[10:11], v[65:66], v[10:11]
	v_fma_f64 v[77:78], v[61:62], v[0:1], -v[77:78]
	v_fma_f64 v[115:116], v[63:64], v[0:1], v[2:3]
	s_waitcnt lgkmcnt(4)
	v_mul_f64 v[61:62], v[75:76], v[6:7]
	v_fma_f64 v[93:94], v[65:66], v[8:9], -v[93:94]
	v_mul_f64 v[63:64], v[73:74], v[6:7]
	v_fma_f64 v[10:11], v[67:68], v[8:9], v[10:11]
	ds_read_b128 v[0:3], v87
	ds_read_b128 v[6:9], v12
	s_waitcnt vmcnt(11)
	v_mul_f64 v[65:66], v[71:72], v[15:16]
	v_mul_f64 v[15:16], v[69:70], v[15:16]
	s_waitcnt vmcnt(9) lgkmcnt(3)
	v_mul_f64 v[67:68], v[109:110], v[23:24]
	v_mul_f64 v[23:24], v[107:108], v[23:24]
	v_fma_f64 v[73:74], v[73:74], v[4:5], -v[61:62]
	v_fma_f64 v[4:5], v[75:76], v[4:5], v[63:64]
	v_fma_f64 v[69:70], v[69:70], v[13:14], -v[65:66]
	v_fma_f64 v[71:72], v[71:72], v[13:14], v[15:16]
	ds_read_b128 v[13:16], v97 offset:22400
	ds_read_b128 v[61:64], v97 offset:25600
	v_mul_f64 v[65:66], v[101:102], v[19:20]
	v_fma_f64 v[75:76], v[107:108], v[21:22], -v[67:68]
	v_mul_f64 v[67:68], v[99:100], v[19:20]
	v_fma_f64 v[107:108], v[109:110], v[21:22], v[23:24]
	s_waitcnt vmcnt(8) lgkmcnt(1)
	v_mul_f64 v[23:24], v[15:16], v[27:28]
	v_mul_f64 v[27:28], v[13:14], v[27:28]
	ds_read_b128 v[19:22], v97 offset:54400
	s_waitcnt vmcnt(6)
	v_mul_f64 v[109:110], v[113:114], v[35:36]
	v_mul_f64 v[35:36], v[111:112], v[35:36]
	v_fma_f64 v[99:100], v[99:100], v[17:18], -v[65:66]
	v_fma_f64 v[101:102], v[101:102], v[17:18], v[67:68]
	ds_read_b128 v[65:68], v97 offset:57600
	s_waitcnt lgkmcnt(1)
	v_mul_f64 v[17:18], v[21:22], v[31:32]
	v_fma_f64 v[119:120], v[15:16], v[25:26], v[27:28]
	v_mul_f64 v[27:28], v[19:20], v[31:32]
	v_fma_f64 v[109:110], v[111:112], v[33:34], -v[109:110]
	v_fma_f64 v[35:36], v[113:114], v[33:34], v[35:36]
	v_fma_f64 v[117:118], v[13:14], v[25:26], -v[23:24]
	s_waitcnt vmcnt(5)
	v_mul_f64 v[31:32], v[63:64], v[39:40]
	v_mul_f64 v[33:34], v[61:62], v[39:40]
	ds_read_b128 v[13:16], v97 offset:41600
	ds_read_b128 v[23:26], v97 offset:44800
	v_fma_f64 v[39:40], v[19:20], v[29:30], -v[17:18]
	v_fma_f64 v[111:112], v[21:22], v[29:30], v[27:28]
	ds_read_b128 v[17:20], v97
	ds_read_b128 v[27:30], v97 offset:60800
	s_waitcnt vmcnt(4) lgkmcnt(3)
	v_mul_f64 v[21:22], v[15:16], v[43:44]
	v_add_f64 v[4:5], v[115:116], -v[4:5]
	v_fma_f64 v[61:62], v[61:62], v[37:38], -v[31:32]
	v_fma_f64 v[63:64], v[63:64], v[37:38], v[33:34]
	v_mul_f64 v[31:32], v[13:14], v[43:44]
	s_waitcnt vmcnt(3)
	v_mul_f64 v[33:34], v[67:68], v[47:48]
	v_mul_f64 v[37:38], v[65:66], v[47:48]
	s_waitcnt lgkmcnt(1)
	v_add_f64 v[10:11], v[19:20], -v[10:11]
	v_add_f64 v[47:48], v[77:78], -v[73:74]
	v_add_f64 v[43:44], v[17:18], -v[93:94]
	v_fma_f64 v[73:74], v[13:14], v[41:42], -v[21:22]
	v_fma_f64 v[93:94], v[15:16], v[41:42], v[31:32]
	v_fma_f64 v[65:66], v[65:66], v[45:46], -v[33:34]
	v_fma_f64 v[67:68], v[67:68], v[45:46], v[37:38]
	v_fma_f64 v[37:38], v[19:20], 2.0, -v[10:11]
	v_fma_f64 v[13:14], v[77:78], 2.0, -v[47:48]
	;; [unrolled: 1-line block ×3, first 2 shown]
	s_waitcnt vmcnt(2)
	v_mul_f64 v[41:42], v[105:106], v[51:52]
	v_mul_f64 v[45:46], v[103:104], v[51:52]
	s_waitcnt vmcnt(1)
	v_mul_f64 v[51:52], v[25:26], v[55:56]
	v_mul_f64 v[55:56], v[23:24], v[55:56]
	s_waitcnt vmcnt(0) lgkmcnt(0)
	v_mul_f64 v[77:78], v[29:30], v[59:60]
	v_mul_f64 v[59:60], v[27:28], v[59:60]
	v_fma_f64 v[21:22], v[17:18], 2.0, -v[43:44]
	ds_read_b128 v[17:20], v98
	ds_read_b128 v[31:34], v96
	v_add_f64 v[15:16], v[37:38], -v[15:16]
	v_fma_f64 v[103:104], v[103:104], v[49:50], -v[41:42]
	v_fma_f64 v[105:106], v[105:106], v[49:50], v[45:46]
	v_fma_f64 v[113:114], v[23:24], v[53:54], -v[51:52]
	v_fma_f64 v[115:116], v[25:26], v[53:54], v[55:56]
	;; [unrolled: 2-line block ×3, first 2 shown]
	v_add_f64 v[49:50], v[0:1], -v[75:76]
	v_add_f64 v[51:52], v[2:3], -v[107:108]
	;; [unrolled: 1-line block ×4, first 2 shown]
	s_waitcnt lgkmcnt(1)
	v_add_f64 v[59:60], v[17:18], -v[109:110]
	v_add_f64 v[75:76], v[19:20], -v[35:36]
	;; [unrolled: 1-line block ×4, first 2 shown]
	v_fma_f64 v[23:24], v[37:38], 2.0, -v[15:16]
	v_fma_f64 v[45:46], v[0:1], 2.0, -v[49:50]
	;; [unrolled: 1-line block ×9, first 2 shown]
	v_add_f64 v[0:1], v[43:44], -v[4:5]
	v_add_f64 v[25:26], v[49:50], -v[25:26]
	;; [unrolled: 1-line block ×4, first 2 shown]
	v_add_f64 v[27:28], v[51:52], v[27:28]
	v_add_f64 v[2:3], v[10:11], v[47:48]
	v_add_f64 v[35:36], v[69:70], -v[39:40]
	v_add_f64 v[37:38], v[71:72], -v[41:42]
	v_fma_f64 v[39:40], v[43:44], 2.0, -v[0:1]
	v_fma_f64 v[47:48], v[49:50], 2.0, -v[25:26]
	;; [unrolled: 1-line block ×5, first 2 shown]
	v_add_f64 v[65:66], v[61:62], -v[65:66]
	v_fma_f64 v[51:52], v[69:70], 2.0, -v[35:36]
	v_fma_f64 v[53:54], v[71:72], 2.0, -v[37:38]
	v_add_f64 v[71:72], v[6:7], -v[73:74]
	v_add_f64 v[73:74], v[8:9], -v[93:94]
	;; [unrolled: 1-line block ×3, first 2 shown]
	s_waitcnt lgkmcnt(0)
	v_add_f64 v[93:94], v[31:32], -v[113:114]
	v_add_f64 v[101:102], v[33:34], -v[115:116]
	;; [unrolled: 1-line block ×5, first 2 shown]
	v_fma_f64 v[41:42], v[10:11], 2.0, -v[2:3]
	v_add_f64 v[55:56], v[59:60], -v[55:56]
	v_fma_f64 v[99:100], v[6:7], 2.0, -v[71:72]
	v_fma_f64 v[107:108], v[8:9], 2.0, -v[73:74]
	;; [unrolled: 1-line block ×8, first 2 shown]
	v_add_f64 v[57:58], v[75:76], v[57:58]
	v_fma_f64 v[21:22], v[21:22], 2.0, -v[13:14]
	v_fma_f64 v[4:5], v[59:60], 2.0, -v[55:56]
	v_add_f64 v[8:9], v[99:100], -v[8:9]
	v_add_f64 v[10:11], v[107:108], -v[10:11]
	;; [unrolled: 1-line block ×3, first 2 shown]
	v_add_f64 v[31:32], v[73:74], v[65:66]
	v_add_f64 v[59:60], v[109:110], -v[61:62]
	v_add_f64 v[61:62], v[33:34], -v[63:64]
	;; [unrolled: 1-line block ×3, first 2 shown]
	v_add_f64 v[65:66], v[101:102], v[69:70]
	v_fma_f64 v[6:7], v[75:76], 2.0, -v[57:58]
	v_fma_f64 v[67:68], v[99:100], 2.0, -v[8:9]
	;; [unrolled: 1-line block ×9, first 2 shown]
	s_barrier
	ds_write_b128 v97, v[21:24]
	ds_write_b128 v97, v[39:42] offset:16000
	ds_write_b128 v97, v[13:16] offset:32000
	ds_write_b128 v97, v[0:3] offset:48000
	ds_write_b128 v87, v[43:46]
	ds_write_b128 v87, v[47:50] offset:16000
	ds_write_b128 v87, v[17:20] offset:32000
	ds_write_b128 v87, v[25:28] offset:48000
	;; [unrolled: 4-line block ×5, first 2 shown]
	s_waitcnt lgkmcnt(0)
	s_barrier
	ds_read_b128 v[4:7], v97
	v_sub_u32_e32 v13, 0, v81
                                        ; implicit-def: $vgpr0_vgpr1
                                        ; implicit-def: $vgpr8_vgpr9
                                        ; implicit-def: $vgpr10_vgpr11
	s_and_saveexec_b64 s[4:5], vcc
	s_xor_b64 s[4:5], exec, s[4:5]
	s_cbranch_execz .LBB0_15
; %bb.14:
	v_mov_b32_e32 v81, v92
	v_lshlrev_b64 v[0:1], 4, v[80:81]
	v_mov_b32_e32 v2, s7
	v_add_co_u32_e32 v0, vcc, s6, v0
	v_addc_co_u32_e32 v1, vcc, v2, v1, vcc
	global_load_dwordx4 v[14:17], v[0:1], off
	ds_read_b128 v[0:3], v13 offset:64000
	s_waitcnt lgkmcnt(0)
	v_add_f64 v[8:9], v[4:5], -v[0:1]
	v_add_f64 v[10:11], v[6:7], v[2:3]
	v_add_f64 v[2:3], v[6:7], -v[2:3]
	v_add_f64 v[0:1], v[4:5], v[0:1]
	v_mul_f64 v[6:7], v[8:9], 0.5
	v_mul_f64 v[4:5], v[10:11], 0.5
	;; [unrolled: 1-line block ×3, first 2 shown]
	s_waitcnt vmcnt(0)
	v_mul_f64 v[8:9], v[6:7], v[16:17]
	v_fma_f64 v[10:11], v[4:5], v[16:17], v[2:3]
	v_fma_f64 v[2:3], v[4:5], v[16:17], -v[2:3]
	v_fma_f64 v[18:19], v[0:1], 0.5, v[8:9]
	v_fma_f64 v[0:1], v[0:1], 0.5, -v[8:9]
	v_fma_f64 v[10:11], -v[14:15], v[6:7], v[10:11]
	v_fma_f64 v[2:3], -v[14:15], v[6:7], v[2:3]
	v_fma_f64 v[8:9], v[4:5], v[14:15], v[18:19]
	v_fma_f64 v[0:1], -v[4:5], v[14:15], v[0:1]
                                        ; implicit-def: $vgpr4_vgpr5
.LBB0_15:
	s_or_saveexec_b64 s[4:5], s[4:5]
	v_mul_i32_i24_e32 v14, 0xffffff70, v86
	s_xor_b64 exec, exec, s[4:5]
	s_cbranch_execz .LBB0_17
; %bb.16:
	s_waitcnt lgkmcnt(0)
	v_add_f64 v[8:9], v[4:5], v[6:7]
	v_add_f64 v[0:1], v[4:5], -v[6:7]
	v_mov_b32_e32 v4, 0
	ds_read_b64 v[2:3], v4 offset:32008
	v_mov_b32_e32 v10, 0
	v_mov_b32_e32 v11, 0
	s_waitcnt lgkmcnt(0)
	v_xor_b32_e32 v3, 0x80000000, v3
	ds_write_b64 v4, v[2:3] offset:32008
	v_mov_b32_e32 v2, v10
	v_mov_b32_e32 v3, v11
.LBB0_17:
	s_or_b64 exec, exec, s[4:5]
	v_mov_b32_e32 v87, 0
	s_waitcnt lgkmcnt(0)
	v_lshlrev_b64 v[4:5], 4, v[86:87]
	v_mov_b32_e32 v6, s7
	v_add_co_u32_e32 v4, vcc, s6, v4
	v_addc_co_u32_e32 v5, vcc, v6, v5, vcc
	global_load_dwordx4 v[4:7], v[4:5], off
	v_mov_b32_e32 v91, v87
	v_lshlrev_b64 v[15:16], 4, v[90:91]
	v_mov_b32_e32 v17, s7
	v_add_co_u32_e32 v15, vcc, s6, v15
	v_addc_co_u32_e32 v16, vcc, v17, v16, vcc
	global_load_dwordx4 v[15:18], v[15:16], off
	ds_write2_b64 v97, v[8:9], v[10:11] offset1:1
	ds_write_b128 v13, v[0:3] offset:64000
	v_add_u32_e32 v14, v95, v14
	ds_read_b128 v[0:3], v14
	ds_read_b128 v[8:11], v13 offset:60800
	v_mov_b32_e32 v90, v87
	v_mov_b32_e32 v27, s7
	v_add_u32_e32 v86, 0x3e8, v80
	s_waitcnt lgkmcnt(0)
	v_add_f64 v[19:20], v[0:1], -v[8:9]
	v_add_f64 v[21:22], v[2:3], v[10:11]
	v_add_f64 v[2:3], v[2:3], -v[10:11]
	v_add_f64 v[0:1], v[0:1], v[8:9]
	v_mul_f64 v[10:11], v[19:20], 0.5
	v_mul_f64 v[19:20], v[21:22], 0.5
	;; [unrolled: 1-line block ×3, first 2 shown]
	v_lshlrev_b64 v[21:22], 4, v[89:90]
	v_mov_b32_e32 v89, v87
	s_waitcnt vmcnt(1)
	v_mul_f64 v[8:9], v[10:11], v[6:7]
	v_fma_f64 v[23:24], v[19:20], v[6:7], v[2:3]
	v_fma_f64 v[6:7], v[19:20], v[6:7], -v[2:3]
	v_fma_f64 v[25:26], v[0:1], 0.5, v[8:9]
	v_fma_f64 v[8:9], v[0:1], 0.5, -v[8:9]
	v_add_co_u32_e32 v0, vcc, s6, v21
	v_addc_co_u32_e32 v1, vcc, v27, v22, vcc
	global_load_dwordx4 v[0:3], v[0:1], off
	v_fma_f64 v[21:22], -v[4:5], v[10:11], v[23:24]
	v_fma_f64 v[6:7], -v[4:5], v[10:11], v[6:7]
	v_fma_f64 v[10:11], v[19:20], v[4:5], v[25:26]
	v_fma_f64 v[4:5], -v[19:20], v[4:5], v[8:9]
	ds_write_b64 v14, v[21:22] offset:8
	ds_write_b64 v13, v[6:7] offset:60808
	ds_write_b64 v14, v[10:11]
	ds_write_b64 v13, v[4:5] offset:60800
	ds_read_b128 v[4:7], v98
	ds_read_b128 v[8:11], v13 offset:57600
	v_mov_b32_e32 v14, s7
	s_waitcnt lgkmcnt(0)
	v_add_f64 v[19:20], v[4:5], -v[8:9]
	v_add_f64 v[21:22], v[6:7], v[10:11]
	v_add_f64 v[6:7], v[6:7], -v[10:11]
	v_add_f64 v[4:5], v[4:5], v[8:9]
	v_mul_f64 v[10:11], v[19:20], 0.5
	v_mul_f64 v[19:20], v[21:22], 0.5
	;; [unrolled: 1-line block ×3, first 2 shown]
	v_lshlrev_b64 v[21:22], 4, v[88:89]
	s_waitcnt vmcnt(1)
	v_mul_f64 v[8:9], v[10:11], v[17:18]
	v_fma_f64 v[23:24], v[19:20], v[17:18], v[6:7]
	v_fma_f64 v[17:18], v[19:20], v[17:18], -v[6:7]
	v_fma_f64 v[25:26], v[4:5], 0.5, v[8:9]
	v_fma_f64 v[8:9], v[4:5], 0.5, -v[8:9]
	v_add_co_u32_e32 v4, vcc, s6, v21
	v_addc_co_u32_e32 v5, vcc, v14, v22, vcc
	global_load_dwordx4 v[4:7], v[4:5], off
	v_fma_f64 v[21:22], -v[15:16], v[10:11], v[23:24]
	v_fma_f64 v[10:11], -v[15:16], v[10:11], v[17:18]
	v_fma_f64 v[17:18], v[19:20], v[15:16], v[25:26]
	v_fma_f64 v[8:9], -v[19:20], v[15:16], v[8:9]
	v_mov_b32_e32 v26, s7
	ds_write2_b64 v98, v[17:18], v[21:22] offset1:1
	ds_write_b128 v13, v[8:11] offset:57600
	ds_read_b128 v[8:11], v12
	ds_read_b128 v[14:17], v13 offset:54400
	s_waitcnt lgkmcnt(0)
	v_add_f64 v[18:19], v[8:9], -v[14:15]
	v_add_f64 v[20:21], v[10:11], v[16:17]
	v_add_f64 v[10:11], v[10:11], -v[16:17]
	v_add_f64 v[8:9], v[8:9], v[14:15]
	v_mul_f64 v[16:17], v[18:19], 0.5
	v_mul_f64 v[18:19], v[20:21], 0.5
	;; [unrolled: 1-line block ×3, first 2 shown]
	v_lshlrev_b64 v[20:21], 4, v[86:87]
	v_add_u32_e32 v86, 0x4b0, v80
	s_waitcnt vmcnt(1)
	v_mul_f64 v[14:15], v[16:17], v[2:3]
	v_fma_f64 v[22:23], v[18:19], v[2:3], v[10:11]
	v_fma_f64 v[2:3], v[18:19], v[2:3], -v[10:11]
	v_fma_f64 v[24:25], v[8:9], 0.5, v[14:15]
	v_fma_f64 v[14:15], v[8:9], 0.5, -v[14:15]
	v_add_co_u32_e32 v8, vcc, s6, v20
	v_addc_co_u32_e32 v9, vcc, v26, v21, vcc
	global_load_dwordx4 v[8:11], v[8:9], off
	v_fma_f64 v[20:21], -v[0:1], v[16:17], v[22:23]
	v_fma_f64 v[2:3], -v[0:1], v[16:17], v[2:3]
	v_fma_f64 v[16:17], v[18:19], v[0:1], v[24:25]
	v_fma_f64 v[0:1], -v[18:19], v[0:1], v[14:15]
	ds_write2_b64 v12, v[16:17], v[20:21] offset1:1
	ds_write_b128 v13, v[0:3] offset:54400
	ds_read_b128 v[0:3], v96
	ds_read_b128 v[14:17], v13 offset:51200
	v_mov_b32_e32 v12, s7
	s_waitcnt lgkmcnt(0)
	v_add_f64 v[18:19], v[0:1], -v[14:15]
	v_add_f64 v[20:21], v[2:3], v[16:17]
	v_add_f64 v[2:3], v[2:3], -v[16:17]
	v_add_f64 v[0:1], v[0:1], v[14:15]
	v_mul_f64 v[16:17], v[18:19], 0.5
	v_mul_f64 v[18:19], v[20:21], 0.5
	v_mul_f64 v[2:3], v[2:3], 0.5
	v_lshlrev_b64 v[20:21], 4, v[86:87]
	v_add_u32_e32 v86, 0x578, v80
	s_waitcnt vmcnt(1)
	v_mul_f64 v[14:15], v[16:17], v[6:7]
	v_fma_f64 v[22:23], v[18:19], v[6:7], v[2:3]
	v_fma_f64 v[6:7], v[18:19], v[6:7], -v[2:3]
	v_fma_f64 v[24:25], v[0:1], 0.5, v[14:15]
	v_fma_f64 v[14:15], v[0:1], 0.5, -v[14:15]
	v_add_co_u32_e32 v0, vcc, s6, v20
	v_addc_co_u32_e32 v1, vcc, v12, v21, vcc
	global_load_dwordx4 v[0:3], v[0:1], off
	v_fma_f64 v[20:21], -v[4:5], v[16:17], v[22:23]
	v_fma_f64 v[6:7], -v[4:5], v[16:17], v[6:7]
	v_fma_f64 v[16:17], v[18:19], v[4:5], v[24:25]
	v_fma_f64 v[4:5], -v[18:19], v[4:5], v[14:15]
	ds_write2_b64 v96, v[16:17], v[20:21] offset1:1
	ds_write_b128 v13, v[4:7] offset:51200
	ds_read_b128 v[4:7], v97 offset:16000
	ds_read_b128 v[14:17], v13 offset:48000
	s_waitcnt lgkmcnt(0)
	v_add_f64 v[18:19], v[4:5], -v[14:15]
	v_add_f64 v[20:21], v[6:7], v[16:17]
	v_add_f64 v[6:7], v[6:7], -v[16:17]
	v_add_f64 v[4:5], v[4:5], v[14:15]
	v_mul_f64 v[16:17], v[18:19], 0.5
	v_mul_f64 v[18:19], v[20:21], 0.5
	;; [unrolled: 1-line block ×3, first 2 shown]
	v_lshlrev_b64 v[20:21], 4, v[86:87]
	v_add_u32_e32 v86, 0x640, v80
	s_waitcnt vmcnt(1)
	v_mul_f64 v[14:15], v[16:17], v[10:11]
	v_fma_f64 v[22:23], v[18:19], v[10:11], v[6:7]
	v_fma_f64 v[10:11], v[18:19], v[10:11], -v[6:7]
	v_fma_f64 v[24:25], v[4:5], 0.5, v[14:15]
	v_fma_f64 v[14:15], v[4:5], 0.5, -v[14:15]
	v_add_co_u32_e32 v4, vcc, s6, v20
	v_addc_co_u32_e32 v5, vcc, v12, v21, vcc
	global_load_dwordx4 v[4:7], v[4:5], off
	v_fma_f64 v[20:21], -v[8:9], v[16:17], v[22:23]
	v_fma_f64 v[10:11], -v[8:9], v[16:17], v[10:11]
	v_fma_f64 v[16:17], v[18:19], v[8:9], v[24:25]
	v_fma_f64 v[8:9], -v[18:19], v[8:9], v[14:15]
	v_add_u32_e32 v12, 0x3800, v97
	ds_write2_b64 v12, v[16:17], v[20:21] offset0:208 offset1:209
	ds_write_b128 v13, v[8:11] offset:48000
	ds_read_b128 v[8:11], v97 offset:19200
	ds_read_b128 v[14:17], v13 offset:44800
	v_mov_b32_e32 v12, s7
	s_waitcnt lgkmcnt(0)
	v_add_f64 v[18:19], v[8:9], -v[14:15]
	v_add_f64 v[20:21], v[10:11], v[16:17]
	v_add_f64 v[10:11], v[10:11], -v[16:17]
	v_add_f64 v[8:9], v[8:9], v[14:15]
	v_mul_f64 v[16:17], v[18:19], 0.5
	v_mul_f64 v[18:19], v[20:21], 0.5
	;; [unrolled: 1-line block ×3, first 2 shown]
	v_lshlrev_b64 v[20:21], 4, v[86:87]
	v_add_u32_e32 v86, 0x708, v80
	s_waitcnt vmcnt(1)
	v_mul_f64 v[14:15], v[16:17], v[2:3]
	v_fma_f64 v[22:23], v[18:19], v[2:3], v[10:11]
	v_fma_f64 v[2:3], v[18:19], v[2:3], -v[10:11]
	v_fma_f64 v[24:25], v[8:9], 0.5, v[14:15]
	v_fma_f64 v[14:15], v[8:9], 0.5, -v[14:15]
	v_add_co_u32_e32 v8, vcc, s6, v20
	v_addc_co_u32_e32 v9, vcc, v12, v21, vcc
	global_load_dwordx4 v[8:11], v[8:9], off
	v_fma_f64 v[20:21], -v[0:1], v[16:17], v[22:23]
	v_fma_f64 v[2:3], -v[0:1], v[16:17], v[2:3]
	v_fma_f64 v[16:17], v[18:19], v[0:1], v[24:25]
	v_fma_f64 v[0:1], -v[18:19], v[0:1], v[14:15]
	v_add_u32_e32 v12, 0x4800, v97
	ds_write2_b64 v12, v[16:17], v[20:21] offset0:96 offset1:97
	ds_write_b128 v13, v[0:3] offset:44800
	ds_read_b128 v[0:3], v97 offset:22400
	ds_read_b128 v[14:17], v13 offset:41600
	v_mov_b32_e32 v12, s7
	s_waitcnt lgkmcnt(0)
	v_add_f64 v[18:19], v[0:1], -v[14:15]
	v_add_f64 v[20:21], v[2:3], v[16:17]
	v_add_f64 v[2:3], v[2:3], -v[16:17]
	v_add_f64 v[0:1], v[0:1], v[14:15]
	v_mul_f64 v[16:17], v[18:19], 0.5
	v_mul_f64 v[18:19], v[20:21], 0.5
	;; [unrolled: 1-line block ×3, first 2 shown]
	v_lshlrev_b64 v[20:21], 4, v[86:87]
	s_waitcnt vmcnt(1)
	v_mul_f64 v[14:15], v[16:17], v[6:7]
	v_fma_f64 v[22:23], v[18:19], v[6:7], v[2:3]
	v_fma_f64 v[6:7], v[18:19], v[6:7], -v[2:3]
	v_fma_f64 v[24:25], v[0:1], 0.5, v[14:15]
	v_fma_f64 v[14:15], v[0:1], 0.5, -v[14:15]
	v_add_co_u32_e32 v0, vcc, s6, v20
	v_addc_co_u32_e32 v1, vcc, v12, v21, vcc
	global_load_dwordx4 v[0:3], v[0:1], off
	v_fma_f64 v[20:21], -v[4:5], v[16:17], v[22:23]
	v_fma_f64 v[6:7], -v[4:5], v[16:17], v[6:7]
	v_fma_f64 v[16:17], v[18:19], v[4:5], v[24:25]
	v_fma_f64 v[4:5], -v[18:19], v[4:5], v[14:15]
	v_add_u32_e32 v12, 0x5000, v97
	ds_write2_b64 v12, v[16:17], v[20:21] offset0:240 offset1:241
	ds_write_b128 v13, v[4:7] offset:41600
	ds_read_b128 v[4:7], v97 offset:25600
	ds_read_b128 v[14:17], v13 offset:38400
	s_waitcnt lgkmcnt(0)
	v_add_f64 v[18:19], v[4:5], -v[14:15]
	v_add_f64 v[20:21], v[6:7], v[16:17]
	v_add_f64 v[6:7], v[6:7], -v[16:17]
	v_add_f64 v[4:5], v[4:5], v[14:15]
	v_mul_f64 v[16:17], v[18:19], 0.5
	v_mul_f64 v[18:19], v[20:21], 0.5
	;; [unrolled: 1-line block ×3, first 2 shown]
	s_waitcnt vmcnt(1)
	v_mul_f64 v[14:15], v[16:17], v[10:11]
	v_fma_f64 v[20:21], v[18:19], v[10:11], v[6:7]
	v_fma_f64 v[6:7], v[18:19], v[10:11], -v[6:7]
	v_fma_f64 v[10:11], v[4:5], 0.5, v[14:15]
	v_fma_f64 v[4:5], v[4:5], 0.5, -v[14:15]
	v_fma_f64 v[14:15], -v[8:9], v[16:17], v[20:21]
	v_fma_f64 v[6:7], -v[8:9], v[16:17], v[6:7]
	v_fma_f64 v[10:11], v[18:19], v[8:9], v[10:11]
	v_fma_f64 v[4:5], -v[18:19], v[8:9], v[4:5]
	v_add_u32_e32 v8, 0x6000, v97
	ds_write2_b64 v8, v[10:11], v[14:15] offset0:128 offset1:129
	ds_write_b128 v13, v[4:7] offset:38400
	ds_read_b128 v[4:7], v97 offset:28800
	ds_read_b128 v[8:11], v13 offset:35200
	s_waitcnt lgkmcnt(0)
	v_add_f64 v[14:15], v[4:5], -v[8:9]
	v_add_f64 v[16:17], v[6:7], v[10:11]
	v_add_f64 v[6:7], v[6:7], -v[10:11]
	v_add_f64 v[4:5], v[4:5], v[8:9]
	v_mul_f64 v[10:11], v[14:15], 0.5
	v_mul_f64 v[14:15], v[16:17], 0.5
	;; [unrolled: 1-line block ×3, first 2 shown]
	s_waitcnt vmcnt(0)
	v_mul_f64 v[8:9], v[10:11], v[2:3]
	v_fma_f64 v[16:17], v[14:15], v[2:3], v[6:7]
	v_fma_f64 v[2:3], v[14:15], v[2:3], -v[6:7]
	v_fma_f64 v[6:7], v[4:5], 0.5, v[8:9]
	v_fma_f64 v[4:5], v[4:5], 0.5, -v[8:9]
	v_fma_f64 v[8:9], -v[0:1], v[10:11], v[16:17]
	v_fma_f64 v[2:3], -v[0:1], v[10:11], v[2:3]
	v_fma_f64 v[6:7], v[14:15], v[0:1], v[6:7]
	v_fma_f64 v[0:1], -v[14:15], v[0:1], v[4:5]
	v_add_u32_e32 v4, 0x7000, v97
	ds_write2_b64 v4, v[6:7], v[8:9] offset0:16 offset1:17
	ds_write_b128 v13, v[0:3] offset:35200
	s_waitcnt lgkmcnt(0)
	s_barrier
	s_and_saveexec_b64 s[4:5], s[0:1]
	s_cbranch_execz .LBB0_20
; %bb.18:
	v_mul_lo_u32 v2, s3, v84
	v_mul_lo_u32 v3, s2, v85
	v_mad_u64_u32 v[0:1], s[0:1], s2, v84, 0
	v_mov_b32_e32 v6, s11
	v_lshl_add_u32 v16, v80, 4, 0
	v_add3_u32 v1, v1, v3, v2
	v_lshlrev_b64 v[0:1], 4, v[0:1]
	v_mov_b32_e32 v81, v87
	v_add_co_u32_e32 v0, vcc, s10, v0
	v_addc_co_u32_e32 v8, vcc, v6, v1, vcc
	v_lshlrev_b64 v[6:7], 4, v[82:83]
	ds_read_b128 v[2:5], v16
	v_add_co_u32_e32 v1, vcc, v0, v6
	v_addc_co_u32_e32 v0, vcc, v8, v7, vcc
	v_lshlrev_b64 v[6:7], 4, v[80:81]
	v_add_u32_e32 v86, 0xc8, v80
	v_add_co_u32_e32 v10, vcc, v1, v6
	v_addc_co_u32_e32 v11, vcc, v0, v7, vcc
	ds_read_b128 v[6:9], v16 offset:60800
	s_waitcnt lgkmcnt(1)
	global_store_dwordx4 v[10:11], v[2:5], off
	ds_read_b128 v[2:5], v16 offset:3200
	v_lshlrev_b64 v[10:11], 4, v[86:87]
	v_add_u32_e32 v86, 0x190, v80
	v_add_co_u32_e32 v14, vcc, v1, v10
	v_addc_co_u32_e32 v15, vcc, v0, v11, vcc
	ds_read_b128 v[10:13], v16 offset:6400
	s_waitcnt lgkmcnt(1)
	global_store_dwordx4 v[14:15], v[2:5], off
	s_movk_i32 s0, 0xc7
	v_lshlrev_b64 v[2:3], 4, v[86:87]
	v_add_u32_e32 v86, 0x258, v80
	v_add_co_u32_e32 v2, vcc, v1, v2
	v_addc_co_u32_e32 v3, vcc, v0, v3, vcc
	s_waitcnt lgkmcnt(0)
	global_store_dwordx4 v[2:3], v[10:13], off
	ds_read_b128 v[2:5], v16 offset:9600
	v_lshlrev_b64 v[10:11], 4, v[86:87]
	v_add_u32_e32 v86, 0x320, v80
	v_add_co_u32_e32 v14, vcc, v1, v10
	v_addc_co_u32_e32 v15, vcc, v0, v11, vcc
	ds_read_b128 v[10:13], v16 offset:12800
	s_waitcnt lgkmcnt(1)
	global_store_dwordx4 v[14:15], v[2:5], off
	s_nop 0
	v_lshlrev_b64 v[2:3], 4, v[86:87]
	v_add_u32_e32 v86, 0x3e8, v80
	v_add_co_u32_e32 v2, vcc, v1, v2
	v_addc_co_u32_e32 v3, vcc, v0, v3, vcc
	s_waitcnt lgkmcnt(0)
	global_store_dwordx4 v[2:3], v[10:13], off
	ds_read_b128 v[2:5], v16 offset:16000
	v_lshlrev_b64 v[10:11], 4, v[86:87]
	v_add_u32_e32 v86, 0x4b0, v80
	v_add_co_u32_e32 v14, vcc, v1, v10
	v_addc_co_u32_e32 v15, vcc, v0, v11, vcc
	ds_read_b128 v[10:13], v16 offset:19200
	s_waitcnt lgkmcnt(1)
	global_store_dwordx4 v[14:15], v[2:5], off
	s_nop 0
	;; [unrolled: 15-line block ×8, first 2 shown]
	v_lshlrev_b64 v[2:3], 4, v[86:87]
	v_add_u32_e32 v86, 0xed8, v80
	v_add_co_u32_e32 v2, vcc, v1, v2
	v_addc_co_u32_e32 v3, vcc, v0, v3, vcc
	s_waitcnt lgkmcnt(0)
	global_store_dwordx4 v[2:3], v[10:13], off
	v_lshlrev_b64 v[2:3], 4, v[86:87]
	v_add_co_u32_e32 v2, vcc, v1, v2
	v_addc_co_u32_e32 v3, vcc, v0, v3, vcc
	v_cmp_eq_u32_e32 vcc, s0, v80
	global_store_dwordx4 v[2:3], v[6:9], off
	s_and_b64 exec, exec, vcc
	s_cbranch_execz .LBB0_20
; %bb.19:
	v_mov_b32_e32 v2, 0
	ds_read_b128 v[2:5], v2 offset:64000
	v_add_co_u32_e32 v6, vcc, 0xf000, v1
	v_addc_co_u32_e32 v7, vcc, 0, v0, vcc
	s_waitcnt lgkmcnt(0)
	global_store_dwordx4 v[6:7], v[2:5], off offset:2560
.LBB0_20:
	s_endpgm
	.section	.rodata,"a",@progbits
	.p2align	6, 0x0
	.amdhsa_kernel fft_rtc_fwd_len4000_factors_10_10_10_4_wgs_200_tpt_200_halfLds_dp_op_CI_CI_unitstride_sbrr_R2C_dirReg
		.amdhsa_group_segment_fixed_size 0
		.amdhsa_private_segment_fixed_size 0
		.amdhsa_kernarg_size 104
		.amdhsa_user_sgpr_count 6
		.amdhsa_user_sgpr_private_segment_buffer 1
		.amdhsa_user_sgpr_dispatch_ptr 0
		.amdhsa_user_sgpr_queue_ptr 0
		.amdhsa_user_sgpr_kernarg_segment_ptr 1
		.amdhsa_user_sgpr_dispatch_id 0
		.amdhsa_user_sgpr_flat_scratch_init 0
		.amdhsa_user_sgpr_private_segment_size 0
		.amdhsa_uses_dynamic_stack 0
		.amdhsa_system_sgpr_private_segment_wavefront_offset 0
		.amdhsa_system_sgpr_workgroup_id_x 1
		.amdhsa_system_sgpr_workgroup_id_y 0
		.amdhsa_system_sgpr_workgroup_id_z 0
		.amdhsa_system_sgpr_workgroup_info 0
		.amdhsa_system_vgpr_workitem_id 0
		.amdhsa_next_free_vgpr 143
		.amdhsa_next_free_sgpr 28
		.amdhsa_reserve_vcc 1
		.amdhsa_reserve_flat_scratch 0
		.amdhsa_float_round_mode_32 0
		.amdhsa_float_round_mode_16_64 0
		.amdhsa_float_denorm_mode_32 3
		.amdhsa_float_denorm_mode_16_64 3
		.amdhsa_dx10_clamp 1
		.amdhsa_ieee_mode 1
		.amdhsa_fp16_overflow 0
		.amdhsa_exception_fp_ieee_invalid_op 0
		.amdhsa_exception_fp_denorm_src 0
		.amdhsa_exception_fp_ieee_div_zero 0
		.amdhsa_exception_fp_ieee_overflow 0
		.amdhsa_exception_fp_ieee_underflow 0
		.amdhsa_exception_fp_ieee_inexact 0
		.amdhsa_exception_int_div_zero 0
	.end_amdhsa_kernel
	.text
.Lfunc_end0:
	.size	fft_rtc_fwd_len4000_factors_10_10_10_4_wgs_200_tpt_200_halfLds_dp_op_CI_CI_unitstride_sbrr_R2C_dirReg, .Lfunc_end0-fft_rtc_fwd_len4000_factors_10_10_10_4_wgs_200_tpt_200_halfLds_dp_op_CI_CI_unitstride_sbrr_R2C_dirReg
                                        ; -- End function
	.section	.AMDGPU.csdata,"",@progbits
; Kernel info:
; codeLenInByte = 17216
; NumSgprs: 32
; NumVgprs: 143
; ScratchSize: 0
; MemoryBound: 0
; FloatMode: 240
; IeeeMode: 1
; LDSByteSize: 0 bytes/workgroup (compile time only)
; SGPRBlocks: 3
; VGPRBlocks: 35
; NumSGPRsForWavesPerEU: 32
; NumVGPRsForWavesPerEU: 143
; Occupancy: 1
; WaveLimiterHint : 1
; COMPUTE_PGM_RSRC2:SCRATCH_EN: 0
; COMPUTE_PGM_RSRC2:USER_SGPR: 6
; COMPUTE_PGM_RSRC2:TRAP_HANDLER: 0
; COMPUTE_PGM_RSRC2:TGID_X_EN: 1
; COMPUTE_PGM_RSRC2:TGID_Y_EN: 0
; COMPUTE_PGM_RSRC2:TGID_Z_EN: 0
; COMPUTE_PGM_RSRC2:TIDIG_COMP_CNT: 0
	.type	__hip_cuid_8060f6b987ae0047,@object ; @__hip_cuid_8060f6b987ae0047
	.section	.bss,"aw",@nobits
	.globl	__hip_cuid_8060f6b987ae0047
__hip_cuid_8060f6b987ae0047:
	.byte	0                               ; 0x0
	.size	__hip_cuid_8060f6b987ae0047, 1

	.ident	"AMD clang version 19.0.0git (https://github.com/RadeonOpenCompute/llvm-project roc-6.4.0 25133 c7fe45cf4b819c5991fe208aaa96edf142730f1d)"
	.section	".note.GNU-stack","",@progbits
	.addrsig
	.addrsig_sym __hip_cuid_8060f6b987ae0047
	.amdgpu_metadata
---
amdhsa.kernels:
  - .args:
      - .actual_access:  read_only
        .address_space:  global
        .offset:         0
        .size:           8
        .value_kind:     global_buffer
      - .offset:         8
        .size:           8
        .value_kind:     by_value
      - .actual_access:  read_only
        .address_space:  global
        .offset:         16
        .size:           8
        .value_kind:     global_buffer
      - .actual_access:  read_only
        .address_space:  global
        .offset:         24
        .size:           8
        .value_kind:     global_buffer
      - .actual_access:  read_only
        .address_space:  global
        .offset:         32
        .size:           8
        .value_kind:     global_buffer
      - .offset:         40
        .size:           8
        .value_kind:     by_value
      - .actual_access:  read_only
        .address_space:  global
        .offset:         48
        .size:           8
        .value_kind:     global_buffer
      - .actual_access:  read_only
        .address_space:  global
        .offset:         56
        .size:           8
        .value_kind:     global_buffer
      - .offset:         64
        .size:           4
        .value_kind:     by_value
      - .actual_access:  read_only
        .address_space:  global
        .offset:         72
        .size:           8
        .value_kind:     global_buffer
      - .actual_access:  read_only
        .address_space:  global
        .offset:         80
        .size:           8
        .value_kind:     global_buffer
      - .actual_access:  read_only
        .address_space:  global
        .offset:         88
        .size:           8
        .value_kind:     global_buffer
      - .actual_access:  write_only
        .address_space:  global
        .offset:         96
        .size:           8
        .value_kind:     global_buffer
    .group_segment_fixed_size: 0
    .kernarg_segment_align: 8
    .kernarg_segment_size: 104
    .language:       OpenCL C
    .language_version:
      - 2
      - 0
    .max_flat_workgroup_size: 200
    .name:           fft_rtc_fwd_len4000_factors_10_10_10_4_wgs_200_tpt_200_halfLds_dp_op_CI_CI_unitstride_sbrr_R2C_dirReg
    .private_segment_fixed_size: 0
    .sgpr_count:     32
    .sgpr_spill_count: 0
    .symbol:         fft_rtc_fwd_len4000_factors_10_10_10_4_wgs_200_tpt_200_halfLds_dp_op_CI_CI_unitstride_sbrr_R2C_dirReg.kd
    .uniform_work_group_size: 1
    .uses_dynamic_stack: false
    .vgpr_count:     143
    .vgpr_spill_count: 0
    .wavefront_size: 64
amdhsa.target:   amdgcn-amd-amdhsa--gfx906
amdhsa.version:
  - 1
  - 2
...

	.end_amdgpu_metadata
